;; amdgpu-corpus repo=ROCm/rocFFT kind=compiled arch=gfx1030 opt=O3
	.text
	.amdgcn_target "amdgcn-amd-amdhsa--gfx1030"
	.amdhsa_code_object_version 6
	.protected	bluestein_single_back_len1764_dim1_dp_op_CI_CI ; -- Begin function bluestein_single_back_len1764_dim1_dp_op_CI_CI
	.globl	bluestein_single_back_len1764_dim1_dp_op_CI_CI
	.p2align	8
	.type	bluestein_single_back_len1764_dim1_dp_op_CI_CI,@function
bluestein_single_back_len1764_dim1_dp_op_CI_CI: ; @bluestein_single_back_len1764_dim1_dp_op_CI_CI
; %bb.0:
	s_load_dwordx4 s[12:15], s[4:5], 0x28
	v_mul_u32_u24_e32 v1, 0x209, v0
	s_mov_b64 s[38:39], s[2:3]
	s_mov_b64 s[36:37], s[0:1]
	v_mov_b32_e32 v21, 0
	s_add_u32 s36, s36, s7
	v_lshrrev_b32_e32 v1, 16, v1
	s_addc_u32 s37, s37, 0
	s_mov_b32 s0, exec_lo
	v_add_nc_u32_e32 v20, s6, v1
	s_waitcnt lgkmcnt(0)
	v_cmpx_gt_u64_e64 s[12:13], v[20:21]
	s_cbranch_execz .LBB0_18
; %bb.1:
	s_clause 0x1
	s_load_dwordx4 s[8:11], s[4:5], 0x18
	s_load_dwordx4 s[0:3], s[4:5], 0x0
	v_mul_lo_u16 v1, 0x7e, v1
	v_mov_b32_e32 v21, v20
	s_load_dwordx2 s[4:5], s[4:5], 0x38
	v_sub_nc_u16 v0, v0, v1
	v_and_b32_e32 v17, 0xffff, v0
	v_lshlrev_b32_e32 v16, 4, v17
	s_waitcnt lgkmcnt(0)
	s_load_dwordx4 s[16:19], s[8:9], 0x0
	s_clause 0x1
	global_load_dwordx4 v[28:31], v16, s[0:1]
	global_load_dwordx4 v[32:35], v16, s[0:1] offset:2016
	v_add_co_u32 v15, s6, s0, v16
	v_add_co_ci_u32_e64 v27, null, s1, 0, s6
	buffer_store_dword v21, off, s[36:39], 0 ; 4-byte Folded Spill
	buffer_store_dword v22, off, s[36:39], 0 offset:4 ; 4-byte Folded Spill
	v_add_co_u32 v1, vcc_lo, 0x3000, v15
	v_add_co_ci_u32_e32 v2, vcc_lo, 0, v27, vcc_lo
	v_add_co_u32 v3, vcc_lo, 0x3800, v15
	v_add_co_ci_u32_e32 v4, vcc_lo, 0, v27, vcc_lo
	;; [unrolled: 2-line block ×3, first 2 shown]
	s_waitcnt lgkmcnt(0)
	v_mad_u64_u32 v[7:8], null, s18, v20, 0
	v_add_co_u32 v9, vcc_lo, 0x4000, v15
	v_mad_u64_u32 v[11:12], null, s16, v17, 0
	v_add_co_ci_u32_e32 v10, vcc_lo, 0, v27, vcc_lo
	v_add_co_u32 v13, vcc_lo, 0x1000, v15
	v_mad_u64_u32 v[20:21], null, s19, v20, v[8:9]
	v_add_co_ci_u32_e32 v14, vcc_lo, 0, v27, vcc_lo
	v_mad_u64_u32 v[23:24], null, s17, v17, v[12:13]
	v_add_co_u32 v18, vcc_lo, 0x4800, v15
	v_mov_b32_e32 v8, v20
	s_clause 0x2
	global_load_dwordx4 v[108:111], v[1:2], off offset:1824
	global_load_dwordx4 v[140:143], v[3:4], off offset:1792
	;; [unrolled: 1-line block ×3, first 2 shown]
	v_add_co_ci_u32_e32 v19, vcc_lo, 0, v27, vcc_lo
	v_mov_b32_e32 v12, v23
	v_lshlrev_b64 v[1:2], 4, v[7:8]
	v_add_co_u32 v21, vcc_lo, 0x1800, v15
	v_add_co_ci_u32_e32 v22, vcc_lo, 0, v27, vcc_lo
	v_lshlrev_b64 v[3:4], 4, v[11:12]
	v_add_co_u32 v1, vcc_lo, s14, v1
	v_add_co_ci_u32_e32 v2, vcc_lo, s15, v2, vcc_lo
	s_mul_i32 s6, s17, 0x3720
	v_add_co_u32 v1, vcc_lo, v1, v3
	v_add_co_ci_u32_e32 v2, vcc_lo, v2, v4, vcc_lo
	s_mul_hi_u32 s7, s16, 0x3720
	s_mul_i32 s8, s16, 0x3720
	s_add_i32 s7, s7, s6
	v_add_co_u32 v5, vcc_lo, v1, s8
	s_mul_hi_u32 s12, s16, 0xffffd0c0
	v_add_co_ci_u32_e32 v6, vcc_lo, s7, v2, vcc_lo
	s_mul_i32 s9, s17, 0xffffd0c0
	s_mul_i32 s13, s16, 0xffffd0c0
	s_sub_i32 s6, s12, s16
	v_add_co_u32 v11, vcc_lo, v5, s13
	s_add_i32 s6, s6, s9
	s_clause 0x1
	global_load_dwordx4 v[136:139], v[9:10], off offset:1760
	global_load_dwordx4 v[44:47], v[13:14], off offset:1952
	v_add_co_ci_u32_e32 v12, vcc_lo, s6, v6, vcc_lo
	s_clause 0x1
	global_load_dwordx4 v[40:43], v[18:19], off offset:1728
	global_load_dwordx4 v[36:39], v[21:22], off offset:1920
	s_clause 0x1
	global_load_dwordx4 v[1:4], v[1:2], off
	global_load_dwordx4 v[5:8], v[5:6], off
	v_add_co_u32 v23, vcc_lo, v11, s8
	v_add_co_ci_u32_e32 v24, vcc_lo, s7, v12, vcc_lo
	s_clause 0x1
	global_load_dwordx4 v[9:12], v[11:12], off
	global_load_dwordx4 v[56:59], v[23:24], off
	v_add_co_u32 v13, vcc_lo, v23, s13
	v_add_co_ci_u32_e32 v14, vcc_lo, s6, v24, vcc_lo
	v_add_co_u32 v18, vcc_lo, v13, s8
	v_add_co_ci_u32_e32 v19, vcc_lo, s7, v14, vcc_lo
	;; [unrolled: 2-line block ×5, first 2 shown]
	global_load_dwordx4 v[60:63], v[13:14], off
	global_load_dwordx4 v[64:67], v[18:19], off
	;; [unrolled: 1-line block ×5, first 2 shown]
	v_add_co_u32 v13, vcc_lo, v22, s8
	v_add_co_ci_u32_e32 v14, vcc_lo, s7, v23, vcc_lo
	v_add_co_u32 v18, vcc_lo, 0x5000, v15
	v_add_co_ci_u32_e32 v19, vcc_lo, 0, v27, vcc_lo
	;; [unrolled: 2-line block ×5, first 2 shown]
	global_load_dwordx4 v[80:83], v[13:14], off
	global_load_dwordx4 v[148:151], v[18:19], off offset:1696
	global_load_dwordx4 v[84:87], v[20:21], off
	global_load_dwordx4 v[144:147], v[22:23], off offset:1888
	global_load_dwordx4 v[88:91], v[24:25], off
	v_add_co_u32 v13, vcc_lo, 0x5800, v15
	v_add_co_ci_u32_e32 v14, vcc_lo, 0, v27, vcc_lo
	v_add_co_u32 v18, vcc_lo, v24, s13
	v_add_co_ci_u32_e32 v19, vcc_lo, s6, v25, vcc_lo
	;; [unrolled: 2-line block ×5, first 2 shown]
	global_load_dwordx4 v[152:155], v[13:14], off offset:1664
	global_load_dwordx4 v[92:95], v[18:19], off
	s_clause 0x1
	global_load_dwordx4 v[48:51], v[20:21], off offset:1856
	global_load_dwordx4 v[52:55], v[22:23], off offset:1632
	global_load_dwordx4 v[96:99], v[24:25], off
	v_lshlrev_b32_e32 v15, 1, v17
	v_cmp_gt_u16_e32 vcc_lo, 0x54, v0
	s_waitcnt vmcnt(18)
	v_mul_f64 v[13:14], v[3:4], v[30:31]
	s_waitcnt vmcnt(17)
	v_mul_f64 v[20:21], v[7:8], v[110:111]
	v_mul_f64 v[18:19], v[1:2], v[30:31]
	;; [unrolled: 1-line block ×3, first 2 shown]
	s_waitcnt vmcnt(16)
	v_mul_f64 v[24:25], v[11:12], v[34:35]
	v_mul_f64 v[26:27], v[9:10], v[34:35]
	s_waitcnt vmcnt(15)
	v_mul_f64 v[100:101], v[58:59], v[142:143]
	v_mul_f64 v[102:103], v[56:57], v[142:143]
	v_fma_f64 v[1:2], v[1:2], v[28:29], v[13:14]
	buffer_store_dword v28, off, s[36:39], 0 offset:8 ; 4-byte Folded Spill
	buffer_store_dword v29, off, s[36:39], 0 offset:12 ; 4-byte Folded Spill
	;; [unrolled: 1-line block ×4, first 2 shown]
	v_fma_f64 v[5:6], v[5:6], v[108:109], v[20:21]
	buffer_store_dword v108, off, s[36:39], 0 offset:136 ; 4-byte Folded Spill
	buffer_store_dword v109, off, s[36:39], 0 offset:140 ; 4-byte Folded Spill
	;; [unrolled: 1-line block ×4, first 2 shown]
	v_add_nc_u32_e32 v30, 0x5e8, v15
	v_fma_f64 v[9:10], v[9:10], v[32:33], v[24:25]
	buffer_store_dword v32, off, s[36:39], 0 offset:24 ; 4-byte Folded Spill
	buffer_store_dword v33, off, s[36:39], 0 offset:28 ; 4-byte Folded Spill
	;; [unrolled: 1-line block ×4, first 2 shown]
	s_waitcnt vmcnt(14)
	v_mul_f64 v[104:105], v[62:63], v[134:135]
	s_waitcnt vmcnt(13)
	v_mul_f64 v[13:14], v[66:67], v[138:139]
	;; [unrolled: 2-line block ×4, first 2 shown]
	v_fma_f64 v[56:57], v[56:57], v[140:141], v[100:101]
	buffer_store_dword v140, off, s[36:39], 0 offset:120 ; 4-byte Folded Spill
	buffer_store_dword v141, off, s[36:39], 0 offset:124 ; 4-byte Folded Spill
	;; [unrolled: 1-line block ×4, first 2 shown]
	v_mul_f64 v[106:107], v[60:61], v[134:135]
	s_waitcnt vmcnt(10)
	v_mul_f64 v[110:111], v[76:77], v[38:39]
	s_waitcnt vmcnt(8)
	v_mul_f64 v[112:113], v[82:83], v[150:151]
	v_mul_f64 v[114:115], v[80:81], v[150:151]
	s_waitcnt vmcnt(6)
	v_mul_f64 v[116:117], v[86:87], v[146:147]
	v_fma_f64 v[60:61], v[60:61], v[132:133], v[104:105]
	buffer_store_dword v132, off, s[36:39], 0 offset:88 ; 4-byte Folded Spill
	buffer_store_dword v133, off, s[36:39], 0 offset:92 ; 4-byte Folded Spill
	;; [unrolled: 1-line block ×4, first 2 shown]
	v_mul_f64 v[118:119], v[84:85], v[146:147]
	s_waitcnt vmcnt(4)
	v_mul_f64 v[120:121], v[90:91], v[154:155]
	v_mul_f64 v[122:123], v[88:89], v[154:155]
	v_fma_f64 v[80:81], v[80:81], v[148:149], v[112:113]
	s_waitcnt vmcnt(2)
	v_mul_f64 v[124:125], v[94:95], v[50:51]
	v_fma_f64 v[84:85], v[84:85], v[144:145], v[116:117]
	v_mul_f64 v[126:127], v[92:93], v[50:51]
	s_waitcnt vmcnt(0)
	v_mul_f64 v[128:129], v[98:99], v[54:55]
	v_mul_f64 v[130:131], v[96:97], v[54:55]
	v_fma_f64 v[88:89], v[88:89], v[152:153], v[120:121]
	v_fma_f64 v[92:93], v[92:93], v[48:49], v[124:125]
	v_fma_f64 v[94:95], v[94:95], v[48:49], -v[126:127]
	v_fma_f64 v[96:97], v[96:97], v[52:53], v[128:129]
	v_fma_f64 v[98:99], v[98:99], v[52:53], -v[130:131]
	v_fma_f64 v[3:4], v[3:4], v[28:29], -v[18:19]
	v_mul_f64 v[18:19], v[64:65], v[138:139]
	v_fma_f64 v[7:8], v[7:8], v[108:109], -v[22:23]
	v_mul_f64 v[108:109], v[78:79], v[38:39]
	v_fma_f64 v[64:65], v[64:65], v[136:137], v[13:14]
	buffer_store_dword v136, off, s[36:39], 0 offset:104 ; 4-byte Folded Spill
	buffer_store_dword v137, off, s[36:39], 0 offset:108 ; 4-byte Folded Spill
	;; [unrolled: 1-line block ×4, first 2 shown]
	v_mul_f64 v[22:23], v[68:69], v[46:47]
	v_fma_f64 v[68:69], v[68:69], v[44:45], v[20:21]
	buffer_store_dword v44, off, s[36:39], 0 offset:72 ; 4-byte Folded Spill
	buffer_store_dword v45, off, s[36:39], 0 offset:76 ; 4-byte Folded Spill
	;; [unrolled: 1-line block ×4, first 2 shown]
	v_fma_f64 v[11:12], v[11:12], v[32:33], -v[26:27]
	v_mul_f64 v[26:27], v[72:73], v[42:43]
	v_fma_f64 v[72:73], v[72:73], v[40:41], v[24:25]
	buffer_store_dword v40, off, s[36:39], 0 offset:56 ; 4-byte Folded Spill
	buffer_store_dword v41, off, s[36:39], 0 offset:60 ; 4-byte Folded Spill
	;; [unrolled: 1-line block ×4, first 2 shown]
	v_fma_f64 v[58:59], v[58:59], v[140:141], -v[102:103]
	v_and_b32_e32 v28, 1, v17
	v_add_nc_u32_e32 v29, 0x4ec, v15
	v_lshlrev_b32_e32 v20, 5, v17
	v_lshlrev_b32_e32 v21, 4, v30
	;; [unrolled: 1-line block ×3, first 2 shown]
	v_fma_f64 v[76:77], v[76:77], v[36:37], v[108:109]
	buffer_store_dword v36, off, s[36:39], 0 offset:40 ; 4-byte Folded Spill
	buffer_store_dword v37, off, s[36:39], 0 offset:44 ; 4-byte Folded Spill
	;; [unrolled: 1-line block ×16, first 2 shown]
	s_load_dwordx4 s[8:11], s[10:11], 0x0
	v_fma_f64 v[62:63], v[62:63], v[132:133], -v[106:107]
	v_fma_f64 v[66:67], v[66:67], v[136:137], -v[18:19]
	v_add_co_u32 v18, s6, 0x7e, v17
	v_fma_f64 v[70:71], v[70:71], v[44:45], -v[22:23]
	v_add_co_ci_u32_e64 v13, null, 0, 0, s6
	v_lshlrev_b32_e32 v22, 4, v29
	v_fma_f64 v[74:75], v[74:75], v[40:41], -v[26:27]
	v_lshlrev_b32_e32 v26, 5, v18
	v_lshlrev_b32_e32 v31, 1, v18
                                        ; implicit-def: $vgpr136_vgpr137
	v_fma_f64 v[78:79], v[78:79], v[36:37], -v[110:111]
	v_fma_f64 v[82:83], v[82:83], v[148:149], -v[114:115]
	;; [unrolled: 1-line block ×4, first 2 shown]
	ds_write_b128 v16, v[1:4]
	ds_write_b128 v16, v[5:8] offset:14112
	ds_write_b128 v16, v[9:12] offset:2016
	;; [unrolled: 1-line block ×13, first 2 shown]
	s_waitcnt lgkmcnt(0)
	s_waitcnt_vscnt null, 0x0
	s_barrier
	buffer_gl0_inv
	ds_read_b128 v[1:4], v16 offset:14112
	ds_read_b128 v[5:8], v16
	ds_read_b128 v[9:12], v16 offset:2016
	ds_read_b128 v[56:59], v16 offset:16128
	;; [unrolled: 1-line block ×12, first 2 shown]
	v_add_co_u32 v149, s6, 0xfc, v17
	v_add_co_ci_u32_e64 v13, null, 0, 0, s6
	v_add_co_u32 v19, s6, 0x17a, v17
	v_add_co_u32 v148, null, 0x1f8, v17
	s_waitcnt lgkmcnt(12)
	v_add_f64 v[1:2], v[5:6], -v[1:2]
	v_add_f64 v[3:4], v[7:8], -v[3:4]
	s_waitcnt lgkmcnt(10)
	v_add_f64 v[56:57], v[9:10], -v[56:57]
	s_waitcnt lgkmcnt(8)
	v_add_f64 v[60:61], v[64:65], -v[60:61]
	v_add_f64 v[62:63], v[66:67], -v[62:63]
	s_waitcnt lgkmcnt(6)
	v_add_f64 v[72:73], v[68:69], -v[72:73]
	;; [unrolled: 3-line block ×3, first 2 shown]
	v_add_f64 v[78:79], v[82:83], -v[78:79]
	v_add_f64 v[58:59], v[11:12], -v[58:59]
	s_waitcnt lgkmcnt(1)
	v_add_f64 v[92:93], v[84:85], -v[92:93]
	v_add_f64 v[94:95], v[86:87], -v[94:95]
	s_waitcnt lgkmcnt(0)
	v_add_f64 v[96:97], v[88:89], -v[96:97]
	v_add_f64 v[98:99], v[90:91], -v[98:99]
	v_add_co_ci_u32_e64 v13, null, 0, 0, s6
	v_lshlrev_b32_e32 v25, 5, v149
	v_lshlrev_b32_e32 v24, 5, v19
	;; [unrolled: 1-line block ×4, first 2 shown]
	s_barrier
	v_fma_f64 v[5:6], v[5:6], 2.0, -v[1:2]
	v_fma_f64 v[7:8], v[7:8], 2.0, -v[3:4]
	;; [unrolled: 1-line block ×14, first 2 shown]
	buffer_gl0_inv
	ds_write_b128 v20, v[1:4] offset:16
	ds_write_b128 v20, v[5:8]
	ds_write_b128 v26, v[9:12]
	buffer_store_dword v26, off, s[36:39], 0 offset:292 ; 4-byte Folded Spill
	ds_write_b128 v26, v[56:59] offset:16
	ds_write_b128 v25, v[64:67]
	buffer_store_dword v25, off, s[36:39], 0 offset:288 ; 4-byte Folded Spill
	ds_write_b128 v25, v[60:63] offset:16
	;; [unrolled: 3-line block ×4, first 2 shown]
	ds_write_b128 v13, v[84:87] offset:20160
	buffer_store_dword v22, off, s[36:39], 0 offset:272 ; 4-byte Folded Spill
	ds_write_b128 v22, v[92:95] offset:16
	ds_write_b128 v13, v[88:91] offset:24192
	buffer_store_dword v21, off, s[36:39], 0 offset:264 ; 4-byte Folded Spill
	ds_write_b128 v21, v[96:99] offset:16
	s_waitcnt lgkmcnt(0)
	s_waitcnt_vscnt null, 0x0
	s_barrier
	buffer_gl0_inv
	global_load_dwordx4 v[100:103], v14, s[2:3]
	ds_read_b128 v[1:4], v16 offset:14112
	ds_read_b128 v[5:8], v16 offset:16128
	;; [unrolled: 1-line block ×8, first 2 shown]
	ds_read_b128 v[76:79], v16
	ds_read_b128 v[80:83], v16 offset:2016
	ds_read_b128 v[84:87], v16 offset:4032
	;; [unrolled: 1-line block ×5, first 2 shown]
	v_lshlrev_b32_e32 v32, 1, v149
	v_lshlrev_b32_e32 v33, 1, v19
	v_and_or_b32 v15, 0xfc, v15, v28
	s_waitcnt vmcnt(0) lgkmcnt(0)
	s_barrier
	buffer_gl0_inv
	v_mul_f64 v[13:14], v[3:4], v[102:103]
	v_mul_f64 v[20:21], v[1:2], v[102:103]
	;; [unrolled: 1-line block ×14, first 2 shown]
	v_fma_f64 v[1:2], v[1:2], v[100:101], -v[13:14]
	v_fma_f64 v[3:4], v[3:4], v[100:101], v[20:21]
	v_fma_f64 v[5:6], v[5:6], v[100:101], -v[22:23]
	v_fma_f64 v[7:8], v[7:8], v[100:101], v[24:25]
	;; [unrolled: 2-line block ×7, first 2 shown]
	v_add_f64 v[1:2], v[76:77], -v[1:2]
	v_add_f64 v[3:4], v[78:79], -v[3:4]
	;; [unrolled: 1-line block ×14, first 2 shown]
	v_lshlrev_b32_e32 v13, 1, v148
	v_lshlrev_b32_e32 v23, 4, v15
	v_and_or_b32 v14, 0x1fc, v31, v28
	v_and_or_b32 v15, 0x3fc, v32, v28
	;; [unrolled: 1-line block ×6, first 2 shown]
	v_fma_f64 v[76:77], v[76:77], 2.0, -v[1:2]
	v_fma_f64 v[78:79], v[78:79], 2.0, -v[3:4]
	;; [unrolled: 1-line block ×14, first 2 shown]
	v_lshlrev_b32_e32 v25, 4, v14
	v_lshlrev_b32_e32 v24, 4, v15
	;; [unrolled: 1-line block ×6, first 2 shown]
	ds_write_b128 v23, v[1:4] offset:32
	buffer_store_dword v23, off, s[36:39], 0 offset:232 ; 4-byte Folded Spill
	ds_write_b128 v23, v[76:79]
	ds_write_b128 v25, v[80:83]
	buffer_store_dword v25, off, s[36:39], 0 offset:256 ; 4-byte Folded Spill
	ds_write_b128 v25, v[5:8] offset:32
	ds_write_b128 v24, v[84:87]
	buffer_store_dword v24, off, s[36:39], 0 offset:252 ; 4-byte Folded Spill
	ds_write_b128 v24, v[9:12] offset:32
	;; [unrolled: 3-line block ×6, first 2 shown]
	s_waitcnt lgkmcnt(0)
	s_waitcnt_vscnt null, 0x0
	s_barrier
	buffer_gl0_inv
	ds_read_b128 v[76:79], v16
	ds_read_b128 v[64:67], v16 offset:2016
	ds_read_b128 v[128:131], v16 offset:9408
	;; [unrolled: 1-line block ×11, first 2 shown]
	s_and_saveexec_b32 s6, vcc_lo
	s_cbranch_execz .LBB0_3
; %bb.2:
	ds_read_b128 v[60:63], v16 offset:8064
	ds_read_b128 v[56:59], v16 offset:17472
	;; [unrolled: 1-line block ×3, first 2 shown]
.LBB0_3:
	s_or_b32 exec_lo, exec_lo, s6
	v_and_b32_e32 v34, 3, v17
	v_and_b32_e32 v28, 3, v19
	;; [unrolled: 1-line block ×3, first 2 shown]
	v_lshrrev_b32_e32 v8, 2, v18
	v_lshrrev_b32_e32 v9, 2, v149
	v_lshlrev_b32_e32 v0, 5, v34
	v_lshlrev_b32_e32 v1, 5, v28
	s_mov_b32 s6, 0xe8584caa
	v_mul_u32_u24_e32 v32, 12, v8
	v_mul_u32_u24_e32 v33, 12, v9
	s_clause 0x5
	global_load_dwordx4 v[96:99], v0, s[2:3] offset:32
	global_load_dwordx4 v[88:91], v0, s[2:3] offset:48
	;; [unrolled: 1-line block ×5, first 2 shown]
	global_load_dwordx2 v[35:36], v1, s[2:3] offset:56
	v_lshlrev_b32_e32 v0, 5, v29
	v_lshrrev_b32_e32 v1, 2, v148
	s_mov_b32 s7, 0x3febb67a
	s_mov_b32 s13, 0xbfebb67a
	;; [unrolled: 1-line block ×3, first 2 shown]
	global_load_dwordx2 v[37:38], v0, s[2:3] offset:32
	buffer_store_dword v1, off, s[36:39], 0 offset:304 ; 4-byte Folded Spill
	v_lshrrev_b32_e32 v0, 2, v17
	v_lshrrev_b32_e32 v30, 2, v19
	v_mul_u32_u24_e32 v31, 12, v0
	v_mul_u32_u24_e32 v30, 12, v30
	v_or_b32_e32 v31, v31, v34
	s_waitcnt vmcnt(5) lgkmcnt(7)
	v_mul_f64 v[4:5], v[134:135], v[90:91]
	s_waitcnt vmcnt(4)
	v_mul_f64 v[8:9], v[114:115], v[74:75]
	v_mul_f64 v[6:7], v[132:133], v[90:91]
	;; [unrolled: 1-line block ×3, first 2 shown]
	s_waitcnt vmcnt(1) lgkmcnt(0)
	v_mul_f64 v[144:145], v[110:111], v[35:36]
	buffer_store_dword v35, off, s[36:39], 0 offset:200 ; 4-byte Folded Spill
	buffer_store_dword v36, off, s[36:39], 0 offset:204 ; 4-byte Folded Spill
	s_waitcnt vmcnt(0)
	s_waitcnt_vscnt null, 0x0
	v_mul_f64 v[2:3], v[128:129], v[98:99]
	v_mul_f64 v[10:11], v[112:113], v[74:75]
	;; [unrolled: 1-line block ×14, first 2 shown]
	v_fma_f64 v[4:5], v[132:133], v[88:89], -v[4:5]
	v_fma_f64 v[8:9], v[112:113], v[37:38], -v[8:9]
	buffer_store_dword v37, off, s[36:39], 0 offset:208 ; 4-byte Folded Spill
	buffer_store_dword v38, off, s[36:39], 0 offset:212 ; 4-byte Folded Spill
	v_fma_f64 v[0:1], v[128:129], v[96:97], -v[0:1]
	v_fma_f64 v[6:7], v[134:135], v[88:89], v[6:7]
	s_barrier
	s_waitcnt_vscnt null, 0x0
	buffer_gl0_inv
	v_fma_f64 v[2:3], v[130:131], v[96:97], v[2:3]
	v_fma_f64 v[12:13], v[116:117], v[86:87], -v[12:13]
	v_fma_f64 v[14:15], v[118:119], v[86:87], v[14:15]
	v_fma_f64 v[20:21], v[120:121], v[96:97], -v[20:21]
	;; [unrolled: 2-line block ×6, first 2 shown]
	v_add_f64 v[122:123], v[64:65], v[8:9]
	v_add_f64 v[116:117], v[76:77], v[0:1]
	;; [unrolled: 1-line block ×3, first 2 shown]
	v_add_f64 v[126:127], v[0:1], -v[4:5]
	v_add_f64 v[124:125], v[2:3], -v[6:7]
	v_add_f64 v[120:121], v[78:79], v[2:3]
	v_add_f64 v[2:3], v[2:3], v[6:7]
	;; [unrolled: 1-line block ×3, first 2 shown]
	v_add_f64 v[132:133], v[8:9], -v[12:13]
	v_add_f64 v[8:9], v[80:81], v[20:21]
	v_add_f64 v[134:135], v[20:21], v[24:25]
	v_add_f64 v[136:137], v[22:23], -v[26:27]
	v_add_f64 v[20:21], v[20:21], -v[24:25]
	v_add_f64 v[142:143], v[68:69], v[104:105]
	v_add_f64 v[150:151], v[56:57], v[112:113]
	v_add_f64 v[158:159], v[56:57], -v[112:113]
	v_fma_f64 v[76:77], v[118:119], -0.5, v[76:77]
	v_fma_f64 v[78:79], v[2:3], -0.5, v[78:79]
	;; [unrolled: 1-line block ×3, first 2 shown]
	v_add_f64 v[0:1], v[116:117], v[4:5]
	v_add_f64 v[2:3], v[120:121], v[6:7]
	v_fma_f64 v[80:81], v[134:135], -0.5, v[80:81]
	v_add_f64 v[8:9], v[8:9], v[24:25]
	v_add_f64 v[4:5], v[122:123], v[12:13]
	v_mul_f64 v[146:147], v[108:109], v[35:36]
	v_fma_f64 v[108:109], v[108:109], v[92:93], -v[144:145]
	v_fma_f64 v[10:11], v[114:115], v[37:38], v[10:11]
	v_fma_f64 v[114:115], v[138:139], v[88:89], v[156:157]
	v_add_f64 v[138:139], v[82:83], v[22:23]
	v_fma_f64 v[110:111], v[110:111], v[92:93], v[146:147]
	v_add_f64 v[22:23], v[22:23], v[26:27]
	v_add_f64 v[140:141], v[104:105], v[108:109]
	v_add_f64 v[154:155], v[104:105], -v[108:109]
	v_add_f64 v[104:105], v[60:61], v[56:57]
	v_add_f64 v[156:157], v[62:63], v[58:59]
	;; [unrolled: 1-line block ×3, first 2 shown]
	v_fma_f64 v[56:57], v[124:125], s[6:7], v[76:77]
	v_add_f64 v[128:129], v[10:11], -v[14:15]
	v_add_f64 v[130:131], v[66:67], v[10:11]
	v_add_f64 v[10:11], v[10:11], v[14:15]
	v_add_f64 v[144:145], v[106:107], v[110:111]
	v_add_f64 v[152:153], v[58:59], v[114:115]
	v_add_f64 v[146:147], v[106:107], -v[110:111]
	v_add_f64 v[106:107], v[70:71], v[106:107]
	v_add_f64 v[118:119], v[58:59], -v[114:115]
	v_fma_f64 v[22:23], v[22:23], -0.5, v[82:83]
	v_add_f64 v[120:121], v[104:105], v[112:113]
	v_add_f64 v[122:123], v[156:157], v[114:115]
	v_fma_f64 v[58:59], v[126:127], s[12:13], v[78:79]
	v_fma_f64 v[64:65], v[128:129], s[6:7], v[160:161]
	v_add_f64 v[6:7], v[130:131], v[14:15]
	v_fma_f64 v[116:117], v[10:11], -0.5, v[66:67]
	v_fma_f64 v[130:131], v[140:141], -0.5, v[68:69]
	;; [unrolled: 1-line block ×3, first 2 shown]
	v_add_f64 v[10:11], v[138:139], v[26:27]
	v_fma_f64 v[26:27], v[150:151], -0.5, v[60:61]
	v_fma_f64 v[134:135], v[152:153], -0.5, v[62:63]
	v_add_f64 v[14:15], v[106:107], v[110:111]
	v_fma_f64 v[60:61], v[124:125], s[12:13], v[76:77]
	v_fma_f64 v[62:63], v[126:127], s[6:7], v[78:79]
	;; [unrolled: 1-line block ×7, first 2 shown]
	v_or_b32_e32 v20, v32, v29
	v_or_b32_e32 v21, v33, v34
	;; [unrolled: 1-line block ×3, first 2 shown]
	v_lshlrev_b32_e32 v23, 4, v20
	v_lshlrev_b32_e32 v21, 4, v21
	;; [unrolled: 1-line block ×3, first 2 shown]
	v_fma_f64 v[70:71], v[132:133], s[6:7], v[116:117]
	v_fma_f64 v[104:105], v[146:147], s[6:7], v[130:131]
	;; [unrolled: 1-line block ×10, first 2 shown]
	v_lshlrev_b32_e32 v24, 4, v31
	ds_write_b128 v24, v[0:3]
	ds_write_b128 v24, v[56:59] offset:64
	buffer_store_dword v24, off, s[36:39], 0 offset:244 ; 4-byte Folded Spill
	ds_write_b128 v24, v[60:63] offset:128
	ds_write_b128 v23, v[4:7]
	ds_write_b128 v23, v[64:67] offset:64
	buffer_store_dword v23, off, s[36:39], 0 offset:236 ; 4-byte Folded Spill
	ds_write_b128 v23, v[68:71] offset:128
	;; [unrolled: 4-line block ×4, first 2 shown]
	s_and_saveexec_b32 s6, vcc_lo
	s_cbranch_execz .LBB0_5
; %bb.4:
	v_lshrrev_b32_e32 v0, 2, v148
	v_and_b32_e32 v1, 3, v17
	v_mul_u32_u24_e32 v0, 12, v0
	v_or_b32_e32 v0, v0, v1
	v_lshlrev_b32_e32 v0, 4, v0
	ds_write_b128 v0, v[120:123]
	ds_write_b128 v0, v[140:143] offset:64
	ds_write_b128 v0, v[144:147] offset:128
.LBB0_5:
	s_or_b32 exec_lo, exec_lo, s6
	s_waitcnt lgkmcnt(0)
	s_waitcnt_vscnt null, 0x0
	s_barrier
	buffer_gl0_inv
	ds_read_b128 v[136:139], v16
	ds_read_b128 v[132:135], v16 offset:2016
	ds_read_b128 v[12:15], v16 offset:9408
	;; [unrolled: 1-line block ×11, first 2 shown]
	s_and_saveexec_b32 s6, vcc_lo
	s_cbranch_execz .LBB0_7
; %bb.6:
	ds_read_b128 v[120:123], v16 offset:8064
	ds_read_b128 v[140:143], v16 offset:17472
	;; [unrolled: 1-line block ×3, first 2 shown]
.LBB0_7:
	s_or_b32 exec_lo, exec_lo, s6
	v_and_b32_e32 v151, 0xff, v17
	v_and_b32_e32 v150, 0xff, v18
	v_mov_b32_e32 v30, 36
	v_mul_lo_u16 v20, 0xab, v151
	v_lshrrev_b16 v152, 11, v20
	v_mul_lo_u16 v20, v152, 12
	v_sub_nc_u16 v20, v17, v20
	v_and_b32_e32 v153, 0xff, v20
	v_lshlrev_b32_e32 v20, 5, v153
	s_clause 0x1
	global_load_dwordx4 v[56:59], v20, s[2:3] offset:160
	global_load_dwordx4 v[60:63], v20, s[2:3] offset:176
	s_waitcnt vmcnt(1) lgkmcnt(9)
	v_mul_f64 v[20:21], v[14:15], v[58:59]
	v_fma_f64 v[20:21], v[12:13], v[56:57], -v[20:21]
	v_mul_f64 v[12:13], v[12:13], v[58:59]
	v_fma_f64 v[12:13], v[14:15], v[56:57], v[12:13]
	s_waitcnt vmcnt(0) lgkmcnt(7)
	v_mul_f64 v[14:15], v[10:11], v[62:63]
	v_fma_f64 v[22:23], v[8:9], v[60:61], -v[14:15]
	v_mul_f64 v[8:9], v[8:9], v[62:63]
	v_fma_f64 v[14:15], v[10:11], v[60:61], v[8:9]
	v_mul_lo_u16 v8, 0xab, v150
	v_lshrrev_b16 v8, 11, v8
	v_mul_lo_u16 v9, v8, 12
	v_mul_u32_u24_sdwa v8, v8, v30 dst_sel:DWORD dst_unused:UNUSED_PAD src0_sel:WORD_0 src1_sel:DWORD
	v_sub_nc_u16 v9, v18, v9
	v_and_b32_e32 v9, 0xff, v9
	v_lshlrev_b32_e32 v10, 5, v9
	s_clause 0x1
	global_load_dwordx4 v[68:71], v10, s[2:3] offset:160
	global_load_dwordx4 v[64:67], v10, s[2:3] offset:176
	v_add_lshl_u32 v8, v8, v9, 4
	s_waitcnt vmcnt(1)
	v_mul_f64 v[10:11], v[6:7], v[70:71]
	v_fma_f64 v[24:25], v[4:5], v[68:69], -v[10:11]
	v_mul_f64 v[4:5], v[4:5], v[70:71]
	v_fma_f64 v[26:27], v[6:7], v[68:69], v[4:5]
	s_waitcnt vmcnt(0) lgkmcnt(6)
	v_mul_f64 v[4:5], v[2:3], v[66:67]
	v_fma_f64 v[154:155], v[0:1], v[64:65], -v[4:5]
	v_mul_f64 v[0:1], v[0:1], v[66:67]
	v_fma_f64 v[156:157], v[2:3], v[64:65], v[0:1]
	v_mov_b32_e32 v2, 0xaaab
	v_mul_u32_u24_sdwa v0, v149, v2 dst_sel:DWORD dst_unused:UNUSED_PAD src0_sel:WORD_0 src1_sel:DWORD
	v_lshrrev_b32_e32 v28, 19, v0
	v_mul_lo_u16 v0, v28, 12
	v_sub_nc_u16 v29, v149, v0
	v_lshlrev_b16 v0, 5, v29
	v_and_b32_e32 v0, 0xffff, v0
	v_add_co_u32 v0, s6, s2, v0
	v_add_co_ci_u32_e64 v1, null, s3, 0, s6
	s_clause 0x1
	global_load_dwordx4 v[112:115], v[0:1], off offset:160
	global_load_dwordx4 v[104:107], v[0:1], off offset:176
	s_waitcnt vmcnt(1) lgkmcnt(3)
	v_mul_f64 v[0:1], v[118:119], v[114:115]
	v_fma_f64 v[158:159], v[116:117], v[112:113], -v[0:1]
	v_mul_f64 v[0:1], v[116:117], v[114:115]
	v_fma_f64 v[160:161], v[118:119], v[112:113], v[0:1]
	s_waitcnt vmcnt(0) lgkmcnt(1)
	v_mul_f64 v[0:1], v[110:111], v[106:107]
	v_fma_f64 v[162:163], v[108:109], v[104:105], -v[0:1]
	v_mul_f64 v[0:1], v[108:109], v[106:107]
	v_fma_f64 v[164:165], v[110:111], v[104:105], v[0:1]
	v_mul_u32_u24_sdwa v0, v19, v2 dst_sel:DWORD dst_unused:UNUSED_PAD src0_sel:WORD_0 src1_sel:DWORD
	v_lshrrev_b32_e32 v10, 19, v0
	v_mul_lo_u16 v0, v10, 12
	v_sub_nc_u16 v11, v19, v0
	v_lshlrev_b16 v0, 5, v11
	v_and_b32_e32 v0, 0xffff, v0
	v_add_co_u32 v0, s6, s2, v0
	v_add_co_ci_u32_e64 v1, null, s3, 0, s6
	s_clause 0x1
	global_load_dwordx4 v[116:119], v[0:1], off offset:160
	global_load_dwordx4 v[108:111], v[0:1], off offset:176
	s_waitcnt vmcnt(1)
	v_mul_f64 v[0:1], v[82:83], v[118:119]
	v_fma_f64 v[166:167], v[80:81], v[116:117], -v[0:1]
	v_mul_f64 v[0:1], v[80:81], v[118:119]
	v_fma_f64 v[168:169], v[82:83], v[116:117], v[0:1]
	s_waitcnt vmcnt(0) lgkmcnt(0)
	v_mul_f64 v[0:1], v[78:79], v[110:111]
	v_fma_f64 v[170:171], v[76:77], v[108:109], -v[0:1]
	v_mul_f64 v[0:1], v[76:77], v[110:111]
	v_fma_f64 v[172:173], v[78:79], v[108:109], v[0:1]
	v_mul_u32_u24_sdwa v0, v148, v2 dst_sel:DWORD dst_unused:UNUSED_PAD src0_sel:WORD_0 src1_sel:DWORD
	v_lshrrev_b32_e32 v19, 19, v0
	v_mul_lo_u16 v0, v19, 12
	v_sub_nc_u16 v148, v148, v0
	v_lshlrev_b16 v0, 5, v148
	v_mad_u16 v19, v19, 36, v148
	v_and_b32_e32 v0, 0xffff, v0
	v_add_co_u32 v0, s6, s2, v0
	v_add_co_ci_u32_e64 v1, null, s3, 0, s6
	s_clause 0x1
	global_load_dwordx4 v[76:79], v[0:1], off offset:160
	global_load_dwordx4 v[80:83], v[0:1], off offset:176
	s_mov_b32 s6, 0xe8584caa
	s_mov_b32 s7, 0x3febb67a
	;; [unrolled: 1-line block ×3, first 2 shown]
	s_waitcnt vmcnt(0)
	s_barrier
	buffer_gl0_inv
	v_mul_f64 v[0:1], v[142:143], v[78:79]
	v_mul_f64 v[2:3], v[140:141], v[78:79]
	;; [unrolled: 1-line block ×3, first 2 shown]
	v_fma_f64 v[0:1], v[140:141], v[76:77], -v[0:1]
	v_fma_f64 v[6:7], v[142:143], v[76:77], v[2:3]
	v_add_f64 v[140:141], v[20:21], v[22:23]
	v_add_f64 v[142:143], v[12:13], v[14:15]
	v_mul_f64 v[2:3], v[146:147], v[82:83]
	v_fma_f64 v[4:5], v[146:147], v[80:81], v[4:5]
	v_fma_f64 v[140:141], v[140:141], -0.5, v[136:137]
	v_fma_f64 v[142:143], v[142:143], -0.5, v[138:139]
	v_add_f64 v[138:139], v[138:139], v[12:13]
	v_add_f64 v[136:137], v[136:137], v[20:21]
	v_add_f64 v[20:21], v[20:21], -v[22:23]
	v_fma_f64 v[2:3], v[144:145], v[80:81], -v[2:3]
	v_add_f64 v[144:145], v[12:13], -v[14:15]
	v_add_f64 v[14:15], v[138:139], v[14:15]
	v_add_f64 v[12:13], v[136:137], v[22:23]
	v_fma_f64 v[138:139], v[20:21], s[12:13], v[142:143]
	v_fma_f64 v[142:143], v[20:21], s[6:7], v[142:143]
	v_add_f64 v[20:21], v[24:25], v[154:155]
	v_add_f64 v[22:23], v[26:27], v[156:157]
	v_fma_f64 v[136:137], v[144:145], s[6:7], v[140:141]
	v_fma_f64 v[140:141], v[144:145], s[12:13], v[140:141]
	v_fma_f64 v[20:21], v[20:21], -0.5, v[132:133]
	v_fma_f64 v[22:23], v[22:23], -0.5, v[134:135]
	v_add_f64 v[134:135], v[134:135], v[26:27]
	v_add_f64 v[132:133], v[132:133], v[24:25]
	v_add_f64 v[26:27], v[26:27], -v[156:157]
	v_add_f64 v[24:25], v[24:25], -v[154:155]
	v_add_f64 v[134:135], v[134:135], v[156:157]
	v_add_f64 v[132:133], v[132:133], v[154:155]
	v_fma_f64 v[144:145], v[26:27], s[6:7], v[20:21]
	v_fma_f64 v[154:155], v[26:27], s[12:13], v[20:21]
	v_mul_u32_u24_sdwa v20, v152, v30 dst_sel:DWORD dst_unused:UNUSED_PAD src0_sel:WORD_0 src1_sel:DWORD
	v_fma_f64 v[146:147], v[24:25], s[12:13], v[22:23]
	v_fma_f64 v[156:157], v[24:25], s[6:7], v[22:23]
	v_add_f64 v[24:25], v[128:129], v[158:159]
	v_add_f64 v[26:27], v[160:161], -v[164:165]
	v_add_lshl_u32 v31, v20, v153, 4
	ds_write_b128 v31, v[12:15]
	v_add_f64 v[12:13], v[158:159], v[162:163]
	ds_write_b128 v31, v[136:139] offset:192
	buffer_store_dword v31, off, s[36:39], 0 offset:260 ; 4-byte Folded Spill
	ds_write_b128 v31, v[140:143] offset:384
	ds_write_b128 v8, v[132:135]
	ds_write_b128 v8, v[144:147] offset:192
	buffer_store_dword v8, off, s[36:39], 0 offset:268 ; 4-byte Folded Spill
	ds_write_b128 v8, v[154:157] offset:384
	v_mad_u16 v8, v28, 36, v29
	v_fma_f64 v[20:21], v[12:13], -0.5, v[128:129]
	v_add_f64 v[12:13], v[160:161], v[164:165]
	v_fma_f64 v[128:129], v[26:27], s[6:7], v[20:21]
	v_fma_f64 v[22:23], v[12:13], -0.5, v[130:131]
	v_add_f64 v[12:13], v[130:131], v[160:161]
	v_add_f64 v[14:15], v[12:13], v[164:165]
	;; [unrolled: 1-line block ×3, first 2 shown]
	v_add_f64 v[24:25], v[158:159], -v[162:163]
	v_fma_f64 v[158:159], v[26:27], s[12:13], v[20:21]
	v_add_f64 v[20:21], v[166:167], v[170:171]
	v_add_f64 v[26:27], v[124:125], v[166:167]
	v_fma_f64 v[130:131], v[24:25], s[12:13], v[22:23]
	v_fma_f64 v[160:161], v[24:25], s[6:7], v[22:23]
	v_fma_f64 v[20:21], v[20:21], -0.5, v[124:125]
	v_add_f64 v[24:25], v[126:127], v[168:169]
	v_add_f64 v[124:125], v[168:169], -v[172:173]
	v_add_f64 v[22:23], v[168:169], v[172:173]
	v_add_f64 v[162:163], v[26:27], v[170:171]
	;; [unrolled: 1-line block ×3, first 2 shown]
	v_add_f64 v[24:25], v[166:167], -v[170:171]
	v_fma_f64 v[166:167], v[124:125], s[6:7], v[20:21]
	v_fma_f64 v[170:171], v[124:125], s[12:13], v[20:21]
	v_mov_b32_e32 v124, 4
	v_fma_f64 v[22:23], v[22:23], -0.5, v[126:127]
	v_lshlrev_b32_sdwa v8, v124, v8 dst_sel:DWORD dst_unused:UNUSED_PAD src0_sel:DWORD src1_sel:WORD_0
	ds_write_b128 v8, v[12:15]
	ds_write_b128 v8, v[128:131] offset:192
	buffer_store_dword v8, off, s[36:39], 0 offset:284 ; 4-byte Folded Spill
	ds_write_b128 v8, v[158:161] offset:384
	v_mad_u16 v8, v10, 36, v11
	v_add_f64 v[12:13], v[6:7], v[4:5]
	v_add_f64 v[10:11], v[6:7], -v[4:5]
	v_add_f64 v[14:15], v[0:1], -v[2:3]
	buffer_store_dword v19, off, s[36:39], 0 offset:296 ; 4-byte Folded Spill
	v_lshlrev_b32_sdwa v20, v124, v8 dst_sel:DWORD dst_unused:UNUSED_PAD src0_sel:DWORD src1_sel:WORD_0
	v_add_f64 v[8:9], v[0:1], v[2:3]
	v_fma_f64 v[168:169], v[24:25], s[12:13], v[22:23]
	v_fma_f64 v[172:173], v[24:25], s[6:7], v[22:23]
	ds_write_b128 v20, v[162:165]
	buffer_store_dword v20, off, s[36:39], 0 offset:300 ; 4-byte Folded Spill
	v_fma_f64 v[12:13], v[12:13], -0.5, v[122:123]
	v_fma_f64 v[8:9], v[8:9], -0.5, v[120:121]
	ds_write_b128 v20, v[166:169] offset:192
	ds_write_b128 v20, v[170:173] offset:384
	v_fma_f64 v[170:171], v[14:15], s[6:7], v[12:13]
	v_fma_f64 v[168:169], v[10:11], s[12:13], v[8:9]
	s_and_saveexec_b32 s12, vcc_lo
	s_cbranch_execz .LBB0_9
; %bb.8:
	v_add_f64 v[0:1], v[120:121], v[0:1]
	v_mul_f64 v[21:22], v[10:11], s[6:7]
	v_mul_f64 v[14:15], v[14:15], s[6:7]
	v_add_f64 v[19:20], v[122:123], v[6:7]
	v_add_f64 v[10:11], v[0:1], v[2:3]
	buffer_load_dword v0, off, s[36:39], 0 offset:296 ; 4-byte Folded Reload
	v_add_f64 v[6:7], v[12:13], -v[14:15]
	v_add_f64 v[12:13], v[19:20], v[4:5]
	v_add_f64 v[4:5], v[21:22], v[8:9]
	s_waitcnt vmcnt(0)
	v_lshlrev_b32_sdwa v0, v124, v0 dst_sel:DWORD dst_unused:UNUSED_PAD src0_sel:DWORD src1_sel:WORD_0
	ds_write_b128 v0, v[10:13]
	ds_write_b128 v0, v[4:7] offset:192
	ds_write_b128 v0, v[168:171] offset:384
.LBB0_9:
	s_or_b32 exec_lo, exec_lo, s12
	v_mul_lo_u16 v2, v151, 57
	s_waitcnt lgkmcnt(0)
	s_waitcnt_vscnt null, 0x0
	s_barrier
	buffer_gl0_inv
	ds_read_b128 v[176:179], v16
	ds_read_b128 v[6:9], v16 offset:4032
	ds_read_b128 v[10:13], v16 offset:8064
	ds_read_b128 v[136:139], v16 offset:12096
	ds_read_b128 v[140:143], v16 offset:16128
	ds_read_b128 v[144:147], v16 offset:20160
	ds_read_b128 v[152:155], v16 offset:24192
	ds_read_b128 v[172:175], v16 offset:2016
	ds_read_b128 v[160:163], v16 offset:6048
	ds_read_b128 v[164:167], v16 offset:10080
	ds_read_b128 v[180:183], v16 offset:14112
	ds_read_b128 v[184:187], v16 offset:18144
	ds_read_b128 v[188:191], v16 offset:22176
	ds_read_b128 v[192:195], v16 offset:26208
	v_lshrrev_b16 v4, 11, v2
	s_mov_b32 s28, 0x37e14327
	s_mov_b32 s22, 0x36b3c0b5
	;; [unrolled: 1-line block ×4, first 2 shown]
	v_mul_lo_u16 v2, v4, 36
	s_mov_b32 s29, 0x3fe948f6
	s_mov_b32 s23, 0x3fac98ee
	;; [unrolled: 1-line block ×4, first 2 shown]
	v_sub_nc_u16 v2, v17, v2
	s_mov_b32 s26, 0xaaaaaaaa
	s_mov_b32 s16, 0x5476071b
	;; [unrolled: 1-line block ×4, first 2 shown]
	v_and_b32_e32 v5, 0xff, v2
	s_mov_b32 s17, 0x3fe77f67
	s_mov_b32 s19, 0xbfe77f67
	s_mov_b32 s18, s16
	s_mov_b32 s21, 0x3fd5d0dc
	v_mad_u64_u32 v[2:3], null, 0x60, v5, s[2:3]
	s_mov_b32 s15, 0xbfd5d0dc
	s_mov_b32 s14, s20
	;; [unrolled: 1-line block ×4, first 2 shown]
	v_lshlrev_b32_e32 v0, 4, v17
	s_clause 0x3
	global_load_dwordx4 v[120:123], v[2:3], off offset:592
	global_load_dwordx4 v[124:127], v[2:3], off offset:576
	global_load_dwordx4 v[128:131], v[2:3], off offset:560
	global_load_dwordx4 v[132:135], v[2:3], off offset:544
	v_add_co_u32 v0, s0, s0, v0
	v_add_co_ci_u32_e64 v1, null, s1, 0, s0
	s_waitcnt vmcnt(3) lgkmcnt(9)
	v_mul_f64 v[21:22], v[142:143], v[122:123]
	s_waitcnt vmcnt(2)
	v_mul_f64 v[19:20], v[136:137], v[126:127]
	v_mul_f64 v[23:24], v[140:141], v[122:123]
	s_waitcnt vmcnt(0)
	v_mul_f64 v[14:15], v[8:9], v[134:135]
	v_fma_f64 v[21:22], v[140:141], v[120:121], -v[21:22]
	v_fma_f64 v[19:20], v[138:139], v[124:125], v[19:20]
	v_fma_f64 v[23:24], v[142:143], v[120:121], v[23:24]
	v_fma_f64 v[14:15], v[6:7], v[132:133], -v[14:15]
	v_mul_f64 v[6:7], v[6:7], v[134:135]
	v_fma_f64 v[6:7], v[8:9], v[132:133], v[6:7]
	v_mul_f64 v[8:9], v[12:13], v[130:131]
	v_fma_f64 v[8:9], v[10:11], v[128:129], -v[8:9]
	v_mul_f64 v[10:11], v[10:11], v[130:131]
	v_fma_f64 v[10:11], v[12:13], v[128:129], v[10:11]
	v_mul_f64 v[12:13], v[138:139], v[126:127]
	v_fma_f64 v[12:13], v[136:137], v[124:125], -v[12:13]
	s_clause 0x1
	global_load_dwordx4 v[136:139], v[2:3], off offset:624
	global_load_dwordx4 v[140:143], v[2:3], off offset:608
	s_waitcnt vmcnt(0) lgkmcnt(8)
	v_mul_f64 v[2:3], v[146:147], v[142:143]
	v_fma_f64 v[25:26], v[144:145], v[140:141], -v[2:3]
	v_mul_f64 v[2:3], v[144:145], v[142:143]
	v_fma_f64 v[196:197], v[146:147], v[140:141], v[2:3]
	s_waitcnt lgkmcnt(7)
	v_mul_f64 v[2:3], v[154:155], v[138:139]
	v_fma_f64 v[198:199], v[152:153], v[136:137], -v[2:3]
	v_mul_f64 v[2:3], v[152:153], v[138:139]
	v_fma_f64 v[200:201], v[154:155], v[136:137], v[2:3]
	v_mul_lo_u16 v2, v150, 57
	v_lshrrev_b16 v2, 11, v2
	v_mul_lo_u16 v3, v2, 36
	v_sub_nc_u16 v3, v18, v3
	v_and_b32_e32 v3, 0xff, v3
	v_mad_u64_u32 v[202:203], null, 0x60, v3, s[2:3]
	s_clause 0x3
	global_load_dwordx4 v[144:147], v[202:203], off offset:592
	global_load_dwordx4 v[148:151], v[202:203], off offset:576
	;; [unrolled: 1-line block ×4, first 2 shown]
	s_waitcnt vmcnt(0) lgkmcnt(5)
	v_mul_f64 v[204:205], v[162:163], v[158:159]
	v_fma_f64 v[204:205], v[160:161], v[156:157], -v[204:205]
	v_mul_f64 v[160:161], v[160:161], v[158:159]
	v_fma_f64 v[206:207], v[162:163], v[156:157], v[160:161]
	s_waitcnt lgkmcnt(4)
	v_mul_f64 v[160:161], v[166:167], v[154:155]
	v_fma_f64 v[208:209], v[164:165], v[152:153], -v[160:161]
	v_mul_f64 v[160:161], v[164:165], v[154:155]
	v_fma_f64 v[210:211], v[166:167], v[152:153], v[160:161]
	s_waitcnt lgkmcnt(3)
	;; [unrolled: 5-line block ×3, first 2 shown]
	v_mul_f64 v[160:161], v[186:187], v[146:147]
	v_add_f64 v[182:183], v[6:7], v[200:201]
	v_add_f64 v[6:7], v[6:7], -v[200:201]
	v_fma_f64 v[216:217], v[184:185], v[144:145], -v[160:161]
	v_mul_f64 v[160:161], v[184:185], v[146:147]
	v_add_f64 v[184:185], v[8:9], v[25:26]
	v_add_f64 v[8:9], v[8:9], -v[25:26]
	v_add_f64 v[25:26], v[12:13], v[21:22]
	v_add_f64 v[12:13], v[21:22], -v[12:13]
	v_fma_f64 v[218:219], v[186:187], v[144:145], v[160:161]
	s_clause 0x1
	global_load_dwordx4 v[160:163], v[202:203], off offset:624
	global_load_dwordx4 v[164:167], v[202:203], off offset:608
	v_add_f64 v[186:187], v[10:11], v[196:197]
	v_add_f64 v[10:11], v[10:11], -v[196:197]
	s_waitcnt vmcnt(0) lgkmcnt(0)
	s_barrier
	buffer_gl0_inv
	v_mul_f64 v[180:181], v[190:191], v[166:167]
	v_fma_f64 v[220:221], v[188:189], v[164:165], -v[180:181]
	v_mul_f64 v[180:181], v[188:189], v[166:167]
	v_add_f64 v[188:189], v[19:20], v[23:24]
	v_add_f64 v[18:19], v[23:24], -v[19:20]
	v_add_f64 v[22:23], v[186:187], v[182:183]
	v_fma_f64 v[222:223], v[190:191], v[164:165], v[180:181]
	v_mul_f64 v[180:181], v[194:195], v[162:163]
	v_add_f64 v[196:197], v[18:19], v[10:11]
	v_add_f64 v[228:229], v[18:19], -v[10:11]
	v_add_f64 v[10:11], v[10:11], -v[6:7]
	v_add_f64 v[22:23], v[188:189], v[22:23]
	v_add_f64 v[18:19], v[6:7], -v[18:19]
	v_fma_f64 v[224:225], v[192:193], v[160:161], -v[180:181]
	v_mul_f64 v[180:181], v[192:193], v[162:163]
	v_add_f64 v[192:193], v[186:187], -v[182:183]
	v_add_f64 v[182:183], v[182:183], -v[188:189]
	;; [unrolled: 1-line block ×3, first 2 shown]
	v_add_f64 v[202:203], v[178:179], v[22:23]
	v_add_f64 v[6:7], v[196:197], v[6:7]
	v_fma_f64 v[226:227], v[194:195], v[160:161], v[180:181]
	v_add_f64 v[180:181], v[14:15], v[198:199]
	v_add_f64 v[14:15], v[14:15], -v[198:199]
	v_add_f64 v[194:195], v[12:13], v[8:9]
	v_add_f64 v[198:199], v[12:13], -v[8:9]
	v_mul_f64 v[178:179], v[186:187], s[22:23]
	v_fma_f64 v[22:23], v[22:23], s[26:27], v[202:203]
	v_add_f64 v[20:21], v[184:185], v[180:181]
	v_add_f64 v[190:191], v[184:185], -v[180:181]
	v_add_f64 v[180:181], v[180:181], -v[25:26]
	;; [unrolled: 1-line block ×5, first 2 shown]
	v_add_f64 v[14:15], v[194:195], v[14:15]
	v_mul_f64 v[194:195], v[10:11], s[12:13]
	v_fma_f64 v[178:179], v[192:193], s[16:17], -v[178:179]
	v_add_f64 v[20:21], v[25:26], v[20:21]
	v_mul_f64 v[26:27], v[182:183], s[28:29]
	v_mul_f64 v[24:25], v[180:181], s[28:29]
	;; [unrolled: 1-line block ×5, first 2 shown]
	v_add_f64 v[200:201], v[176:177], v[20:21]
	v_mul_f64 v[176:177], v[184:185], s[22:23]
	v_fma_f64 v[184:185], v[184:185], s[22:23], v[24:25]
	v_fma_f64 v[186:187], v[186:187], s[22:23], v[26:27]
	v_fma_f64 v[24:25], v[190:191], s[18:19], -v[24:25]
	v_fma_f64 v[26:27], v[192:193], s[18:19], -v[26:27]
	v_fma_f64 v[192:193], v[18:19], s[20:21], v[182:183]
	v_fma_f64 v[8:9], v[8:9], s[12:13], -v[180:181]
	v_fma_f64 v[10:11], v[10:11], s[12:13], -v[182:183]
	v_fma_f64 v[18:19], v[18:19], s[14:15], -v[194:195]
	v_add_f64 v[194:195], v[178:179], v[22:23]
	v_fma_f64 v[20:21], v[20:21], s[26:27], v[200:201]
	v_fma_f64 v[176:177], v[190:191], s[16:17], -v[176:177]
	v_fma_f64 v[190:191], v[12:13], s[20:21], v[180:181]
	v_fma_f64 v[12:13], v[12:13], s[14:15], -v[188:189]
	v_add_f64 v[198:199], v[186:187], v[22:23]
	v_add_f64 v[22:23], v[26:27], v[22:23]
	v_fma_f64 v[26:27], v[6:7], s[6:7], v[192:193]
	v_fma_f64 v[8:9], v[14:15], s[6:7], v[8:9]
	;; [unrolled: 1-line block ×4, first 2 shown]
	v_add_f64 v[18:19], v[210:211], v[222:223]
	v_add_f64 v[196:197], v[184:185], v[20:21]
	;; [unrolled: 1-line block ×4, first 2 shown]
	v_fma_f64 v[24:25], v[14:15], s[6:7], v[190:191]
	v_fma_f64 v[12:13], v[14:15], s[6:7], v[12:13]
	v_add_f64 v[14:15], v[208:209], v[220:221]
	v_add_f64 v[186:187], v[8:9], v[194:195]
	v_add_f64 v[190:191], v[194:195], -v[8:9]
	v_add_f64 v[8:9], v[206:207], v[226:227]
	v_add_f64 v[176:177], v[26:27], v[196:197]
	v_add_f64 v[184:185], v[188:189], -v[10:11]
	v_add_f64 v[180:181], v[6:7], v[20:21]
	v_add_f64 v[192:193], v[20:21], -v[6:7]
	;; [unrolled: 2-line block ×3, first 2 shown]
	v_add_f64 v[182:183], v[22:23], -v[12:13]
	v_add_f64 v[188:189], v[10:11], v[188:189]
	v_add_f64 v[194:195], v[12:13], v[22:23]
	v_add_f64 v[196:197], v[196:197], -v[26:27]
	v_add_f64 v[198:199], v[24:25], v[198:199]
	v_add_f64 v[10:11], v[204:205], -v[224:225]
	v_add_f64 v[12:13], v[206:207], -v[226:227]
	;; [unrolled: 1-line block ×4, first 2 shown]
	v_add_f64 v[24:25], v[212:213], v[216:217]
	v_add_f64 v[26:27], v[214:215], v[218:219]
	v_add_f64 v[204:205], v[216:217], -v[212:213]
	v_add_f64 v[206:207], v[218:219], -v[214:215]
	v_add_f64 v[210:211], v[18:19], v[8:9]
	v_add_f64 v[214:215], v[18:19], -v[8:9]
	v_add_f64 v[208:209], v[14:15], v[6:7]
	v_add_f64 v[212:213], v[14:15], -v[6:7]
	v_add_f64 v[216:217], v[6:7], -v[24:25]
	;; [unrolled: 1-line block ×5, first 2 shown]
	v_add_f64 v[6:7], v[204:205], v[20:21]
	v_add_f64 v[8:9], v[206:207], v[22:23]
	v_add_f64 v[220:221], v[204:205], -v[20:21]
	v_add_f64 v[222:223], v[206:207], -v[22:23]
	v_add_f64 v[26:27], v[26:27], v[210:211]
	v_add_f64 v[20:21], v[20:21], -v[10:11]
	v_add_f64 v[22:23], v[22:23], -v[12:13]
	;; [unrolled: 3-line block ×3, first 2 shown]
	v_mul_f64 v[208:209], v[14:15], s[22:23]
	v_mul_f64 v[210:211], v[18:19], s[22:23]
	v_add_f64 v[10:11], v[6:7], v[10:11]
	v_add_f64 v[12:13], v[8:9], v[12:13]
	;; [unrolled: 1-line block ×3, first 2 shown]
	v_mul_f64 v[174:175], v[218:219], s[28:29]
	v_mul_f64 v[218:219], v[222:223], s[24:25]
	v_add_f64 v[6:7], v[172:173], v[24:25]
	v_mul_f64 v[172:173], v[216:217], s[28:29]
	v_mul_f64 v[216:217], v[220:221], s[24:25]
	;; [unrolled: 1-line block ×4, first 2 shown]
	v_fma_f64 v[208:209], v[212:213], s[16:17], -v[208:209]
	v_fma_f64 v[210:211], v[214:215], s[16:17], -v[210:211]
	v_fma_f64 v[26:27], v[26:27], s[26:27], v[8:9]
	v_fma_f64 v[18:19], v[18:19], s[22:23], v[174:175]
	v_fma_f64 v[174:175], v[214:215], s[18:19], -v[174:175]
	v_fma_f64 v[24:25], v[24:25], s[26:27], v[6:7]
	v_fma_f64 v[14:15], v[14:15], s[22:23], v[172:173]
	;; [unrolled: 3-line block ×3, first 2 shown]
	v_fma_f64 v[204:205], v[204:205], s[14:15], -v[220:221]
	v_fma_f64 v[206:207], v[206:207], s[14:15], -v[222:223]
	;; [unrolled: 1-line block ×4, first 2 shown]
	v_add_f64 v[210:211], v[210:211], v[26:27]
	v_add_f64 v[18:19], v[18:19], v[26:27]
	;; [unrolled: 1-line block ×6, first 2 shown]
	v_fma_f64 v[218:219], v[10:11], s[6:7], v[212:213]
	v_fma_f64 v[216:217], v[12:13], s[6:7], v[214:215]
	;; [unrolled: 1-line block ×6, first 2 shown]
	v_add_f64 v[12:13], v[18:19], -v[218:219]
	v_add_f64 v[10:11], v[216:217], v[14:15]
	v_add_f64 v[174:175], v[26:27], -v[214:215]
	v_add_f64 v[172:173], v[212:213], v[24:25]
	v_add_f64 v[206:207], v[20:21], v[210:211]
	v_add_f64 v[204:205], v[208:209], -v[22:23]
	v_add_f64 v[208:209], v[22:23], v[208:209]
	v_add_f64 v[210:211], v[210:211], -v[20:21]
	v_add_f64 v[212:213], v[24:25], -v[212:213]
	v_add_f64 v[214:215], v[214:215], v[26:27]
	v_add_f64 v[216:217], v[14:15], -v[216:217]
	v_add_f64 v[218:219], v[218:219], v[18:19]
	v_bfrev_b32_e32 v14, 0.5
	v_mul_u32_u24_sdwa v4, v4, v14 dst_sel:DWORD dst_unused:UNUSED_PAD src0_sel:WORD_0 src1_sel:DWORD
	v_mul_u32_u24_sdwa v2, v2, v14 dst_sel:DWORD dst_unused:UNUSED_PAD src0_sel:WORD_0 src1_sel:DWORD
	v_add_lshl_u32 v19, v4, v5, 4
	v_add_lshl_u32 v18, v2, v3, 4
	ds_write_b128 v19, v[200:203]
	ds_write_b128 v19, v[176:179] offset:576
	ds_write_b128 v19, v[180:183] offset:1152
	;; [unrolled: 1-line block ×6, first 2 shown]
	ds_write_b128 v18, v[6:9]
	ds_write_b128 v18, v[10:13] offset:576
	ds_write_b128 v18, v[172:175] offset:1152
	;; [unrolled: 1-line block ×6, first 2 shown]
	v_mad_u64_u32 v[6:7], null, 0x60, v17, s[2:3]
	s_waitcnt lgkmcnt(0)
	s_barrier
	buffer_gl0_inv
	ds_read_b128 v[224:227], v16
	ds_read_b128 v[2:5], v16 offset:4032
	ds_read_b128 v[204:207], v16 offset:8064
	;; [unrolled: 1-line block ×13, first 2 shown]
	v_add_co_u32 v8, s0, 0xfa0, v6
	v_add_co_ci_u32_e64 v9, s0, 0, v7, s0
	v_add_co_u32 v10, s0, 0x800, v6
	v_add_co_ci_u32_e64 v11, s0, 0, v7, s0
	s_clause 0x3
	global_load_dwordx4 v[180:183], v[10:11], off offset:1952
	global_load_dwordx4 v[172:175], v[8:9], off offset:48
	;; [unrolled: 1-line block ×4, first 2 shown]
	v_add_co_u32 v26, s0, 0xfe0, v6
	v_add_co_ci_u32_e64 v27, s0, 0, v7, s0
	s_waitcnt vmcnt(3) lgkmcnt(12)
	v_mul_f64 v[8:9], v[4:5], v[182:183]
	s_waitcnt vmcnt(2) lgkmcnt(9)
	v_mul_f64 v[22:23], v[190:191], v[174:175]
	s_waitcnt vmcnt(1)
	v_mul_f64 v[14:15], v[194:195], v[178:179]
	v_mul_f64 v[20:21], v[192:193], v[178:179]
	;; [unrolled: 1-line block ×3, first 2 shown]
	s_waitcnt vmcnt(0)
	v_mul_f64 v[12:13], v[204:205], v[186:187]
	v_fma_f64 v[8:9], v[2:3], v[180:181], -v[8:9]
	v_fma_f64 v[22:23], v[188:189], v[172:173], -v[22:23]
	;; [unrolled: 1-line block ×3, first 2 shown]
	v_fma_f64 v[20:21], v[194:195], v[176:177], v[20:21]
	v_fma_f64 v[24:25], v[190:191], v[172:173], v[24:25]
	s_clause 0x1
	global_load_dwordx4 v[188:191], v[10:11], off offset:2016
	global_load_dwordx4 v[192:195], v[26:27], off offset:16
	v_mul_f64 v[2:3], v[2:3], v[182:183]
	v_fma_f64 v[12:13], v[206:207], v[184:185], v[12:13]
	v_fma_f64 v[2:3], v[4:5], v[180:181], v[2:3]
	v_mul_f64 v[4:5], v[206:207], v[186:187]
	v_fma_f64 v[4:5], v[204:205], v[184:185], -v[4:5]
	v_add_co_u32 v204, s0, 0x3ee0, v6
	v_add_co_ci_u32_e64 v205, s0, 0, v7, s0
	v_add_co_u32 v248, s0, 0x3800, v6
	v_add_co_ci_u32_e64 v249, s0, 0, v7, s0
	;; [unrolled: 2-line block ×3, first 2 shown]
	s_waitcnt vmcnt(1) lgkmcnt(8)
	v_mul_f64 v[10:11], v[202:203], v[190:191]
	v_mul_f64 v[26:27], v[200:201], v[190:191]
	v_fma_f64 v[10:11], v[200:201], v[188:189], -v[10:11]
	s_waitcnt vmcnt(0) lgkmcnt(7)
	v_mul_f64 v[200:201], v[198:199], v[194:195]
	v_fma_f64 v[26:27], v[202:203], v[188:189], v[26:27]
	v_fma_f64 v[244:245], v[196:197], v[192:193], -v[200:201]
	v_mul_f64 v[196:197], v[196:197], v[194:195]
	v_add_f64 v[46:47], v[8:9], v[244:245]
	v_fma_f64 v[246:247], v[198:199], v[192:193], v[196:197]
	s_clause 0x3
	global_load_dwordx4 v[208:211], v[248:249], off offset:1760
	global_load_dwordx4 v[196:199], v[204:205], off offset:48
	;; [unrolled: 1-line block ×4, first 2 shown]
	v_add_f64 v[8:9], v[8:9], -v[244:245]
	s_waitcnt vmcnt(3) lgkmcnt(5)
	v_mul_f64 v[250:251], v[242:243], v[210:211]
	s_waitcnt vmcnt(2) lgkmcnt(2)
	v_mul_f64 v[38:39], v[212:213], v[198:199]
	s_waitcnt vmcnt(1)
	v_mul_f64 v[34:35], v[216:217], v[202:203]
	s_waitcnt vmcnt(0)
	v_mul_f64 v[30:31], v[236:237], v[206:207]
	v_fma_f64 v[252:253], v[240:241], v[208:209], -v[250:251]
	v_mul_f64 v[240:241], v[240:241], v[210:211]
	v_fma_f64 v[34:35], v[218:219], v[200:201], v[34:35]
	v_fma_f64 v[38:39], v[214:215], v[196:197], v[38:39]
	;; [unrolled: 1-line block ×4, first 2 shown]
	v_mul_f64 v[240:241], v[238:239], v[206:207]
	v_fma_f64 v[28:29], v[236:237], v[204:205], -v[240:241]
	v_mul_f64 v[236:237], v[218:219], v[202:203]
	v_fma_f64 v[32:33], v[216:217], v[200:201], -v[236:237]
	;; [unrolled: 2-line block ×3, first 2 shown]
	s_clause 0x1
	global_load_dwordx4 v[212:215], v[248:249], off offset:1824
	global_load_dwordx4 v[216:219], v[6:7], off offset:16
	s_waitcnt vmcnt(1) lgkmcnt(1)
	v_mul_f64 v[6:7], v[234:235], v[214:215]
	s_waitcnt vmcnt(0) lgkmcnt(0)
	v_mul_f64 v[42:43], v[230:231], v[218:219]
	v_fma_f64 v[6:7], v[232:233], v[212:213], -v[6:7]
	v_mul_f64 v[232:233], v[232:233], v[214:215]
	v_fma_f64 v[42:43], v[228:229], v[216:217], -v[42:43]
	v_mul_f64 v[228:229], v[228:229], v[218:219]
	v_fma_f64 v[40:41], v[234:235], v[212:213], v[232:233]
	v_add_f64 v[232:233], v[12:13], v[26:27]
	v_fma_f64 v[44:45], v[230:231], v[216:217], v[228:229]
	v_add_f64 v[228:229], v[2:3], v[246:247]
	v_add_f64 v[230:231], v[4:5], v[10:11]
	v_add_f64 v[2:3], v[2:3], -v[246:247]
	v_add_f64 v[4:5], v[4:5], -v[10:11]
	;; [unrolled: 1-line block ×3, first 2 shown]
	v_add_f64 v[12:13], v[14:15], v[22:23]
	v_add_f64 v[26:27], v[20:21], v[24:25]
	v_add_f64 v[14:15], v[22:23], -v[14:15]
	v_add_f64 v[20:21], v[24:25], -v[20:21]
	v_add_f64 v[24:25], v[232:233], v[228:229]
	v_add_f64 v[22:23], v[230:231], v[46:47]
	v_add_f64 v[234:235], v[230:231], -v[46:47]
	v_add_f64 v[236:237], v[232:233], -v[228:229]
	;; [unrolled: 1-line block ×6, first 2 shown]
	v_add_f64 v[238:239], v[14:15], v[4:5]
	v_add_f64 v[240:241], v[20:21], v[10:11]
	v_add_f64 v[242:243], v[14:15], -v[4:5]
	v_add_f64 v[244:245], v[20:21], -v[10:11]
	;; [unrolled: 1-line block ×6, first 2 shown]
	v_add_f64 v[12:13], v[12:13], v[22:23]
	v_add_f64 v[22:23], v[26:27], v[24:25]
	v_mul_f64 v[24:25], v[46:47], s[28:29]
	v_mul_f64 v[26:27], v[228:229], s[28:29]
	;; [unrolled: 1-line block ×4, first 2 shown]
	v_add_f64 v[8:9], v[238:239], v[8:9]
	v_add_f64 v[2:3], v[240:241], v[2:3]
	v_mul_f64 v[238:239], v[242:243], s[24:25]
	v_mul_f64 v[240:241], v[244:245], s[24:25]
	;; [unrolled: 1-line block ×4, first 2 shown]
	v_add_f64 v[224:225], v[224:225], v[12:13]
	v_add_f64 v[226:227], v[226:227], v[22:23]
	v_fma_f64 v[230:231], v[230:231], s[22:23], v[24:25]
	v_fma_f64 v[232:233], v[232:233], s[22:23], v[26:27]
	v_fma_f64 v[46:47], v[234:235], s[16:17], -v[46:47]
	v_fma_f64 v[228:229], v[236:237], s[16:17], -v[228:229]
	;; [unrolled: 1-line block ×5, first 2 shown]
	v_fma_f64 v[236:237], v[20:21], s[20:21], v[240:241]
	v_fma_f64 v[10:11], v[10:11], s[12:13], -v[240:241]
	v_fma_f64 v[20:21], v[20:21], s[14:15], -v[244:245]
	v_fma_f64 v[234:235], v[14:15], s[20:21], v[238:239]
	v_fma_f64 v[14:15], v[14:15], s[14:15], -v[242:243]
	v_fma_f64 v[12:13], v[12:13], s[26:27], v[224:225]
	v_fma_f64 v[22:23], v[22:23], s[26:27], v[226:227]
	;; [unrolled: 1-line block ×4, first 2 shown]
	v_add_f64 v[248:249], v[230:231], v[12:13]
	v_add_f64 v[250:251], v[232:233], v[22:23]
	;; [unrolled: 1-line block ×6, first 2 shown]
	v_fma_f64 v[26:27], v[2:3], s[6:7], v[236:237]
	v_fma_f64 v[2:3], v[2:3], s[6:7], v[20:21]
	;; [unrolled: 1-line block ×4, first 2 shown]
	v_add_f64 v[14:15], v[30:31], v[40:41]
	v_add_f64 v[20:21], v[30:31], -v[40:41]
	v_add_f64 v[236:237], v[46:47], -v[10:11]
	v_add_f64 v[238:239], v[4:5], v[242:243]
	v_add_f64 v[242:243], v[242:243], -v[4:5]
	v_add_f64 v[4:5], v[254:255], v[44:45]
	v_add_f64 v[228:229], v[26:27], v[248:249]
	;; [unrolled: 1-line block ×3, first 2 shown]
	v_add_f64 v[244:245], v[12:13], -v[2:3]
	v_add_f64 v[2:3], v[252:253], v[42:43]
	v_add_f64 v[12:13], v[28:29], v[6:7]
	v_add_f64 v[230:231], v[250:251], -v[24:25]
	v_add_f64 v[234:235], v[22:23], -v[8:9]
	v_add_f64 v[246:247], v[8:9], v[22:23]
	v_add_f64 v[248:249], v[248:249], -v[26:27]
	v_add_f64 v[250:251], v[24:25], v[250:251]
	;; [unrolled: 2-line block ×3, first 2 shown]
	v_add_f64 v[24:25], v[34:35], v[38:39]
	v_add_f64 v[26:27], v[36:37], -v[32:33]
	v_add_f64 v[28:29], v[38:39], -v[34:35]
	v_add_f64 v[240:241], v[10:11], v[46:47]
	v_add_f64 v[8:9], v[252:253], -v[42:43]
	v_add_f64 v[10:11], v[254:255], -v[44:45]
	v_add_f64 v[32:33], v[14:15], v[4:5]
	v_add_f64 v[36:37], v[14:15], -v[4:5]
	v_add_f64 v[30:31], v[12:13], v[2:3]
	v_add_f64 v[34:35], v[12:13], -v[2:3]
	v_add_f64 v[38:39], v[2:3], -v[22:23]
	;; [unrolled: 1-line block ×5, first 2 shown]
	v_add_f64 v[2:3], v[26:27], v[6:7]
	v_add_f64 v[4:5], v[28:29], v[20:21]
	v_add_f64 v[42:43], v[26:27], -v[6:7]
	v_add_f64 v[44:45], v[28:29], -v[20:21]
	;; [unrolled: 1-line block ×4, first 2 shown]
	v_add_f64 v[24:25], v[24:25], v[32:33]
	v_add_f64 v[26:27], v[8:9], -v[26:27]
	v_add_f64 v[28:29], v[10:11], -v[28:29]
	v_add_f64 v[22:23], v[22:23], v[30:31]
	v_mul_f64 v[30:31], v[38:39], s[28:29]
	v_mul_f64 v[32:33], v[40:41], s[28:29]
	;; [unrolled: 1-line block ×4, first 2 shown]
	v_add_f64 v[8:9], v[2:3], v[8:9]
	v_add_f64 v[10:11], v[4:5], v[10:11]
	v_mul_f64 v[42:43], v[42:43], s[24:25]
	v_mul_f64 v[44:45], v[44:45], s[24:25]
	;; [unrolled: 1-line block ×3, first 2 shown]
	v_add_f64 v[4:5], v[222:223], v[24:25]
	v_add_f64 v[2:3], v[220:221], v[22:23]
	v_mul_f64 v[220:221], v[20:21], s[12:13]
	v_fma_f64 v[12:13], v[12:13], s[22:23], v[30:31]
	v_fma_f64 v[14:15], v[14:15], s[22:23], v[32:33]
	v_fma_f64 v[38:39], v[34:35], s[16:17], -v[38:39]
	v_fma_f64 v[40:41], v[36:37], s[16:17], -v[40:41]
	;; [unrolled: 1-line block ×4, first 2 shown]
	v_fma_f64 v[34:35], v[26:27], s[20:21], v[42:43]
	v_fma_f64 v[36:37], v[28:29], s[20:21], v[44:45]
	v_fma_f64 v[26:27], v[26:27], s[14:15], -v[46:47]
	v_fma_f64 v[6:7], v[6:7], s[12:13], -v[42:43]
	v_fma_f64 v[24:25], v[24:25], s[26:27], v[4:5]
	v_fma_f64 v[20:21], v[20:21], s[12:13], -v[44:45]
	v_fma_f64 v[22:23], v[22:23], s[26:27], v[2:3]
	;; [unrolled: 2-line block ×3, first 2 shown]
	v_add_f64 v[14:15], v[14:15], v[24:25]
	v_add_f64 v[40:41], v[40:41], v[24:25]
	;; [unrolled: 1-line block ×3, first 2 shown]
	v_fma_f64 v[32:33], v[10:11], s[6:7], v[36:37]
	v_fma_f64 v[20:21], v[10:11], s[6:7], v[20:21]
	v_add_f64 v[42:43], v[12:13], v[22:23]
	v_add_f64 v[38:39], v[38:39], v[22:23]
	;; [unrolled: 1-line block ×3, first 2 shown]
	v_fma_f64 v[30:31], v[8:9], s[6:7], v[34:35]
	v_fma_f64 v[28:29], v[10:11], s[6:7], v[28:29]
	;; [unrolled: 1-line block ×3, first 2 shown]
	v_add_f64 v[12:13], v[24:25], -v[26:27]
	v_add_f64 v[6:7], v[32:33], v[42:43]
	v_add_f64 v[220:221], v[38:39], -v[20:21]
	v_add_f64 v[252:253], v[20:21], v[38:39]
	;; [unrolled: 2-line block ×3, first 2 shown]
	v_add_f64 v[222:223], v[34:35], v[40:41]
	v_add_f64 v[254:255], v[40:41], -v[34:35]
	v_add_f64 v[20:21], v[22:23], -v[28:29]
	v_add_f64 v[22:23], v[26:27], v[24:25]
	v_add_f64 v[24:25], v[42:43], -v[32:33]
	v_add_f64 v[26:27], v[30:31], v[14:15]
	v_add_co_u32 v14, s0, 0x6e40, v0
	v_add_co_ci_u32_e64 v15, s0, 0, v1, s0
	ds_write_b128 v16, v[224:227]
	ds_write_b128 v16, v[228:231] offset:4032
	ds_write_b128 v16, v[232:235] offset:8064
	;; [unrolled: 1-line block ×13, first 2 shown]
	v_add_co_u32 v6, s0, 0x6800, v0
	v_add_co_ci_u32_e64 v7, s0, 0, v1, s0
	s_waitcnt lgkmcnt(0)
	s_barrier
	buffer_gl0_inv
	global_load_dwordx4 v[6:9], v[6:7], off offset:1600
	ds_read_b128 v[2:5], v16
	v_lshlrev_b32_e32 v28, 5, v17
	s_waitcnt vmcnt(0) lgkmcnt(0)
	v_mul_f64 v[10:11], v[4:5], v[8:9]
	v_fma_f64 v[10:11], v[2:3], v[6:7], -v[10:11]
	v_mul_f64 v[2:3], v[2:3], v[8:9]
	v_fma_f64 v[12:13], v[4:5], v[6:7], v[2:3]
	v_add_co_u32 v6, s0, 0xa000, v0
	v_add_co_ci_u32_e64 v7, s0, 0, v1, s0
	ds_read_b128 v[2:5], v16 offset:14112
	global_load_dwordx4 v[6:9], v[6:7], off offset:1376
	ds_write_b128 v16, v[10:13]
	s_waitcnt vmcnt(0) lgkmcnt(1)
	v_mul_f64 v[10:11], v[4:5], v[8:9]
	v_fma_f64 v[10:11], v[2:3], v[6:7], -v[10:11]
	v_mul_f64 v[2:3], v[2:3], v[8:9]
	v_fma_f64 v[12:13], v[4:5], v[6:7], v[2:3]
	global_load_dwordx4 v[6:9], v[14:15], off offset:2016
	ds_read_b128 v[2:5], v16 offset:2016
	ds_write_b128 v16, v[10:13] offset:14112
	s_waitcnt vmcnt(0) lgkmcnt(1)
	v_mul_f64 v[10:11], v[4:5], v[8:9]
	v_fma_f64 v[10:11], v[2:3], v[6:7], -v[10:11]
	v_mul_f64 v[2:3], v[2:3], v[8:9]
	v_fma_f64 v[12:13], v[4:5], v[6:7], v[2:3]
	v_add_co_u32 v6, s0, 0xa800, v0
	v_add_co_ci_u32_e64 v7, s0, 0, v1, s0
	ds_read_b128 v[2:5], v16 offset:16128
	global_load_dwordx4 v[6:9], v[6:7], off offset:1344
	ds_write_b128 v16, v[10:13] offset:2016
	s_waitcnt vmcnt(0) lgkmcnt(1)
	v_mul_f64 v[10:11], v[4:5], v[8:9]
	v_fma_f64 v[10:11], v[2:3], v[6:7], -v[10:11]
	v_mul_f64 v[2:3], v[2:3], v[8:9]
	v_fma_f64 v[12:13], v[4:5], v[6:7], v[2:3]
	v_add_co_u32 v6, s0, 0x7800, v0
	v_add_co_ci_u32_e64 v7, s0, 0, v1, s0
	ds_read_b128 v[2:5], v16 offset:4032
	global_load_dwordx4 v[6:9], v[6:7], off offset:1536
	;; [unrolled: 10-line block ×9, first 2 shown]
	ds_write_b128 v16, v[10:13] offset:10080
	s_waitcnt vmcnt(0) lgkmcnt(1)
	v_mul_f64 v[10:11], v[4:5], v[8:9]
	v_fma_f64 v[10:11], v[2:3], v[6:7], -v[10:11]
	v_mul_f64 v[2:3], v[2:3], v[8:9]
	v_fma_f64 v[12:13], v[4:5], v[6:7], v[2:3]
	v_add_co_u32 v6, s0, 0x9800, v0
	v_add_co_ci_u32_e64 v7, s0, 0, v1, s0
	ds_read_b128 v[2:5], v16 offset:12096
	v_add_co_u32 v0, s0, 0xd000, v0
	global_load_dwordx4 v[6:9], v[6:7], off offset:1408
	v_add_co_ci_u32_e64 v1, s0, 0, v1, s0
	ds_write_b128 v16, v[10:13] offset:24192
	s_waitcnt vmcnt(0) lgkmcnt(1)
	v_mul_f64 v[10:11], v[4:5], v[8:9]
	v_fma_f64 v[10:11], v[2:3], v[6:7], -v[10:11]
	v_mul_f64 v[2:3], v[2:3], v[8:9]
	v_fma_f64 v[12:13], v[4:5], v[6:7], v[2:3]
	global_load_dwordx4 v[6:9], v[0:1], off offset:1184
	ds_read_b128 v[2:5], v16 offset:26208
	ds_write_b128 v16, v[10:13] offset:12096
	s_waitcnt vmcnt(0) lgkmcnt(1)
	v_mul_f64 v[0:1], v[4:5], v[8:9]
	v_fma_f64 v[0:1], v[2:3], v[6:7], -v[0:1]
	v_mul_f64 v[2:3], v[2:3], v[8:9]
	v_fma_f64 v[2:3], v[4:5], v[6:7], v[2:3]
	ds_write_b128 v16, v[0:3] offset:26208
	s_waitcnt lgkmcnt(0)
	s_barrier
	buffer_gl0_inv
	ds_read_b128 v[0:3], v16
	ds_read_b128 v[4:7], v16 offset:14112
	ds_read_b128 v[8:11], v16 offset:2016
	;; [unrolled: 1-line block ×13, first 2 shown]
	s_waitcnt lgkmcnt(0)
	s_barrier
	buffer_gl0_inv
	v_add_f64 v[4:5], v[0:1], -v[4:5]
	v_add_f64 v[6:7], v[2:3], -v[6:7]
	;; [unrolled: 1-line block ×14, first 2 shown]
	v_fma_f64 v[0:1], v[0:1], 2.0, -v[4:5]
	v_fma_f64 v[2:3], v[2:3], 2.0, -v[6:7]
	ds_write_b128 v28, v[0:3]
	ds_write_b128 v28, v[4:7] offset:16
	buffer_load_dword v0, off, s[36:39], 0 offset:292 ; 4-byte Folded Reload
	v_fma_f64 v[8:9], v[8:9], 2.0, -v[12:13]
	v_fma_f64 v[10:11], v[10:11], 2.0, -v[14:15]
	;; [unrolled: 1-line block ×12, first 2 shown]
	s_waitcnt vmcnt(0)
	ds_write_b128 v0, v[8:11]
	ds_write_b128 v0, v[12:15] offset:16
	buffer_load_dword v0, off, s[36:39], 0 offset:288 ; 4-byte Folded Reload
	s_waitcnt vmcnt(0)
	ds_write_b128 v0, v[20:23]
	ds_write_b128 v0, v[24:27] offset:16
	buffer_load_dword v0, off, s[36:39], 0 offset:280 ; 4-byte Folded Reload
	;; [unrolled: 4-line block ×5, first 2 shown]
	s_waitcnt vmcnt(0)
	ds_write_b128 v0, v[244:247]
	ds_write_b128 v0, v[248:251] offset:16
	s_waitcnt lgkmcnt(0)
	s_barrier
	buffer_gl0_inv
	ds_read_b128 v[0:3], v16
	ds_read_b128 v[4:7], v16 offset:14112
	ds_read_b128 v[8:11], v16 offset:2016
	;; [unrolled: 1-line block ×13, first 2 shown]
	s_waitcnt lgkmcnt(0)
	s_barrier
	buffer_gl0_inv
	v_mul_f64 v[28:29], v[102:103], v[6:7]
	v_fma_f64 v[28:29], v[100:101], v[4:5], v[28:29]
	v_mul_f64 v[4:5], v[102:103], v[4:5]
	v_fma_f64 v[6:7], v[100:101], v[6:7], -v[4:5]
	v_mul_f64 v[4:5], v[102:103], v[14:15]
	v_add_f64 v[6:7], v[2:3], -v[6:7]
	v_fma_f64 v[30:31], v[100:101], v[12:13], v[4:5]
	v_mul_f64 v[4:5], v[102:103], v[12:13]
	v_fma_f64 v[2:3], v[2:3], 2.0, -v[6:7]
	v_add_f64 v[12:13], v[8:9], -v[30:31]
	v_fma_f64 v[14:15], v[100:101], v[14:15], -v[4:5]
	v_mul_f64 v[4:5], v[102:103], v[26:27]
	v_fma_f64 v[8:9], v[8:9], 2.0, -v[12:13]
	v_add_f64 v[14:15], v[10:11], -v[14:15]
	v_fma_f64 v[32:33], v[100:101], v[24:25], v[4:5]
	v_mul_f64 v[4:5], v[102:103], v[24:25]
	v_fma_f64 v[10:11], v[10:11], 2.0, -v[14:15]
	v_add_f64 v[24:25], v[20:21], -v[32:33]
	v_fma_f64 v[26:27], v[100:101], v[26:27], -v[4:5]
	v_mul_f64 v[4:5], v[102:103], v[226:227]
	v_fma_f64 v[20:21], v[20:21], 2.0, -v[24:25]
	v_add_f64 v[26:27], v[22:23], -v[26:27]
	v_fma_f64 v[34:35], v[100:101], v[224:225], v[4:5]
	v_mul_f64 v[4:5], v[102:103], v[224:225]
	v_fma_f64 v[22:23], v[22:23], 2.0, -v[26:27]
	v_add_f64 v[224:225], v[220:221], -v[34:35]
	v_fma_f64 v[36:37], v[100:101], v[226:227], -v[4:5]
	v_mul_f64 v[4:5], v[102:103], v[234:235]
	v_add_f64 v[226:227], v[222:223], -v[36:37]
	v_fma_f64 v[38:39], v[100:101], v[232:233], v[4:5]
	v_mul_f64 v[4:5], v[102:103], v[232:233]
	v_fma_f64 v[232:233], v[220:221], 2.0, -v[224:225]
	v_fma_f64 v[40:41], v[100:101], v[234:235], -v[4:5]
	v_mul_f64 v[4:5], v[102:103], v[242:243]
	v_fma_f64 v[234:235], v[222:223], 2.0, -v[226:227]
	v_fma_f64 v[42:43], v[100:101], v[240:241], v[4:5]
	v_mul_f64 v[4:5], v[102:103], v[240:241]
	v_add_f64 v[240:241], v[228:229], -v[38:39]
	v_fma_f64 v[44:45], v[100:101], v[242:243], -v[4:5]
	v_mul_f64 v[4:5], v[102:103], v[250:251]
	v_add_f64 v[242:243], v[230:231], -v[40:41]
	v_fma_f64 v[228:229], v[228:229], 2.0, -v[240:241]
	v_fma_f64 v[46:47], v[100:101], v[248:249], v[4:5]
	v_mul_f64 v[4:5], v[102:103], v[248:249]
	v_fma_f64 v[230:231], v[230:231], 2.0, -v[242:243]
	v_add_f64 v[248:249], v[236:237], -v[42:43]
	v_add_f64 v[220:221], v[244:245], -v[46:47]
	v_fma_f64 v[100:101], v[100:101], v[250:251], -v[4:5]
	v_add_f64 v[4:5], v[0:1], -v[28:29]
	buffer_load_dword v28, off, s[36:39], 0 offset:232 ; 4-byte Folded Reload
	v_add_f64 v[250:251], v[238:239], -v[44:45]
	v_fma_f64 v[236:237], v[236:237], 2.0, -v[248:249]
	v_add_f64 v[222:223], v[246:247], -v[100:101]
	v_fma_f64 v[0:1], v[0:1], 2.0, -v[4:5]
	v_fma_f64 v[100:101], v[244:245], 2.0, -v[220:221]
	;; [unrolled: 1-line block ×3, first 2 shown]
	s_waitcnt vmcnt(0)
	ds_write_b128 v28, v[0:3]
	ds_write_b128 v28, v[4:7] offset:32
	buffer_load_dword v0, off, s[36:39], 0 offset:256 ; 4-byte Folded Reload
	v_fma_f64 v[102:103], v[246:247], 2.0, -v[222:223]
	s_waitcnt vmcnt(0)
	ds_write_b128 v0, v[8:11]
	ds_write_b128 v0, v[12:15] offset:32
	buffer_load_dword v0, off, s[36:39], 0 offset:252 ; 4-byte Folded Reload
	s_waitcnt vmcnt(0)
	ds_write_b128 v0, v[20:23]
	ds_write_b128 v0, v[24:27] offset:32
	buffer_load_dword v0, off, s[36:39], 0 offset:248 ; 4-byte Folded Reload
	;; [unrolled: 4-line block ×5, first 2 shown]
	s_waitcnt vmcnt(0)
	ds_write_b128 v0, v[100:103]
	ds_write_b128 v0, v[220:223] offset:32
	s_waitcnt lgkmcnt(0)
	s_barrier
	buffer_gl0_inv
	ds_read_b128 v[232:235], v16
	ds_read_b128 v[12:15], v16 offset:9408
	ds_read_b128 v[0:3], v16 offset:18816
	;; [unrolled: 1-line block ×11, first 2 shown]
	s_and_saveexec_b32 s0, vcc_lo
	s_cbranch_execz .LBB0_11
; %bb.10:
	ds_read_b128 v[100:103], v16 offset:8064
	ds_read_b128 v[220:223], v16 offset:17472
	ds_read_b128 v[168:171], v16 offset:26880
.LBB0_11:
	s_or_b32 exec_lo, exec_lo, s0
	s_waitcnt lgkmcnt(10)
	v_mul_f64 v[20:21], v[98:99], v[14:15]
	s_waitcnt lgkmcnt(1)
	v_mul_f64 v[42:43], v[84:85], v[248:249]
	s_mov_b32 s0, 0xe8584caa
	s_mov_b32 s1, 0xbfebb67a
	s_mov_b32 s3, 0x3febb67a
	s_mov_b32 s2, s0
	v_fma_f64 v[20:21], v[96:97], v[12:13], v[20:21]
	v_mul_f64 v[12:13], v[98:99], v[12:13]
	v_fma_f64 v[42:43], v[72:73], v[250:251], -v[42:43]
	v_fma_f64 v[12:13], v[96:97], v[14:15], -v[12:13]
	v_mul_f64 v[14:15], v[98:99], v[10:11]
	v_fma_f64 v[14:15], v[96:97], v[8:9], v[14:15]
	v_mul_f64 v[8:9], v[98:99], v[8:9]
	v_fma_f64 v[8:9], v[96:97], v[10:11], -v[8:9]
	v_mul_f64 v[10:11], v[98:99], v[222:223]
	v_fma_f64 v[22:23], v[96:97], v[220:221], v[10:11]
	v_mul_f64 v[10:11], v[98:99], v[220:221]
	v_fma_f64 v[24:25], v[96:97], v[222:223], -v[10:11]
	v_mul_f64 v[10:11], v[90:91], v[2:3]
	v_add_f64 v[96:97], v[230:231], v[8:9]
	v_fma_f64 v[10:11], v[88:89], v[0:1], v[10:11]
	v_mul_f64 v[0:1], v[90:91], v[0:1]
	v_add_f64 v[44:45], v[20:21], v[10:11]
	v_fma_f64 v[0:1], v[88:89], v[2:3], -v[0:1]
	v_mul_f64 v[2:3], v[90:91], v[6:7]
	v_add_f64 v[220:221], v[20:21], -v[10:11]
	v_fma_f64 v[44:45], v[44:45], -0.5, v[232:233]
	v_add_f64 v[46:47], v[12:13], v[0:1]
	v_fma_f64 v[26:27], v[88:89], v[4:5], v[2:3]
	v_mul_f64 v[2:3], v[90:91], v[4:5]
	s_clause 0x1
	buffer_load_dword v4, off, s[36:39], 0 offset:208
	buffer_load_dword v5, off, s[36:39], 0 offset:212
	v_fma_f64 v[46:47], v[46:47], -0.5, v[234:235]
	v_fma_f64 v[28:29], v[88:89], v[6:7], -v[2:3]
	s_clause 0x1
	buffer_load_dword v6, off, s[36:39], 0 offset:200
	buffer_load_dword v7, off, s[36:39], 0 offset:204
	s_waitcnt lgkmcnt(0)
	v_mul_f64 v[2:3], v[90:91], v[170:171]
	s_waitcnt vmcnt(0)
	s_barrier
	buffer_gl0_inv
	v_fma_f64 v[30:31], v[88:89], v[168:169], v[2:3]
	v_mul_f64 v[2:3], v[90:91], v[168:169]
	v_fma_f64 v[32:33], v[88:89], v[170:171], -v[2:3]
	v_mul_f64 v[2:3], v[74:75], v[246:247]
	v_add_f64 v[170:171], v[12:13], -v[0:1]
	v_fma_f64 v[34:35], v[4:5], v[244:245], v[2:3]
	v_mul_f64 v[2:3], v[74:75], v[244:245]
	v_add_f64 v[88:89], v[236:237], v[34:35]
	v_fma_f64 v[4:5], v[4:5], v[246:247], -v[2:3]
	v_mul_f64 v[2:3], v[6:7], v[254:255]
	v_mul_f64 v[6:7], v[6:7], v[252:253]
	v_add_f64 v[90:91], v[238:239], v[4:5]
	v_fma_f64 v[36:37], v[92:93], v[252:253], v[2:3]
	v_mul_f64 v[2:3], v[94:95], v[242:243]
	v_fma_f64 v[38:39], v[92:93], v[254:255], -v[6:7]
	v_mul_f64 v[6:7], v[94:95], v[240:241]
	v_add_f64 v[94:95], v[8:9], v[28:29]
	v_fma_f64 v[40:41], v[86:87], v[240:241], v[2:3]
	v_mul_f64 v[2:3], v[84:85], v[250:251]
	v_fma_f64 v[6:7], v[86:87], v[242:243], -v[6:7]
	v_add_f64 v[84:85], v[232:233], v[20:21]
	v_add_f64 v[86:87], v[234:235], v[12:13]
	;; [unrolled: 1-line block ×3, first 2 shown]
	v_fma_f64 v[168:169], v[94:95], -0.5, v[230:231]
	v_add_f64 v[94:95], v[228:229], v[14:15]
	v_add_f64 v[232:233], v[102:103], v[24:25]
	v_add_f64 v[234:235], v[24:25], -v[32:33]
	v_fma_f64 v[74:75], v[72:73], v[248:249], v[2:3]
	v_add_f64 v[2:3], v[34:35], v[40:41]
	v_add_f64 v[72:73], v[4:5], v[6:7]
	v_add_f64 v[34:35], v[34:35], -v[40:41]
	v_add_f64 v[12:13], v[74:75], v[36:37]
	v_fma_f64 v[92:93], v[2:3], -0.5, v[236:237]
	v_add_f64 v[2:3], v[14:15], v[26:27]
	v_add_f64 v[222:223], v[224:225], v[74:75]
	v_add_f64 v[236:237], v[22:23], -v[30:31]
	v_fma_f64 v[72:73], v[72:73], -0.5, v[238:239]
	v_add_f64 v[74:75], v[74:75], -v[36:37]
	v_fma_f64 v[98:99], v[2:3], -0.5, v[228:229]
	v_add_f64 v[2:3], v[86:87], v[0:1]
	v_add_f64 v[0:1], v[84:85], v[10:11]
	v_add_f64 v[84:85], v[4:5], -v[6:7]
	v_add_f64 v[4:5], v[88:89], v[40:41]
	v_add_f64 v[86:87], v[24:25], v[32:33]
	v_add_f64 v[88:89], v[8:9], -v[28:29]
	v_add_f64 v[10:11], v[96:97], v[28:29]
	v_fma_f64 v[28:29], v[12:13], -0.5, v[224:225]
	v_add_f64 v[224:225], v[226:227], v[42:43]
	v_add_f64 v[42:43], v[42:43], -v[38:39]
	v_add_f64 v[6:7], v[90:91], v[6:7]
	v_add_f64 v[40:41], v[22:23], v[30:31]
	v_add_f64 v[90:91], v[14:15], -v[26:27]
	v_fma_f64 v[228:229], v[20:21], -0.5, v[226:227]
	v_fma_f64 v[12:13], v[170:171], s[0:1], v[44:45]
	v_fma_f64 v[20:21], v[170:171], s[2:3], v[44:45]
	;; [unrolled: 1-line block ×3, first 2 shown]
	v_add_f64 v[8:9], v[94:95], v[26:27]
	v_fma_f64 v[26:27], v[34:35], s[2:3], v[72:73]
	v_fma_f64 v[94:95], v[34:35], s[0:1], v[72:73]
	;; [unrolled: 1-line block ×4, first 2 shown]
	v_fma_f64 v[230:231], v[86:87], -0.5, v[102:103]
	v_add_f64 v[86:87], v[100:101], v[22:23]
	v_fma_f64 v[22:23], v[220:221], s[0:1], v[46:47]
	v_fma_f64 v[96:97], v[88:89], s[0:1], v[98:99]
	v_add_f64 v[170:171], v[224:225], v[38:39]
	v_fma_f64 v[220:221], v[42:43], s[0:1], v[28:29]
	v_fma_f64 v[224:225], v[42:43], s[2:3], v[28:29]
	buffer_load_dword v28, off, s[36:39], 0 offset:244 ; 4-byte Folded Reload
	v_fma_f64 v[40:41], v[40:41], -0.5, v[100:101]
	v_fma_f64 v[100:101], v[88:89], s[2:3], v[98:99]
	v_fma_f64 v[98:99], v[90:91], s[2:3], v[168:169]
	;; [unrolled: 1-line block ×3, first 2 shown]
	v_add_f64 v[168:169], v[222:223], v[36:37]
	v_fma_f64 v[222:223], v[74:75], s[2:3], v[228:229]
	v_fma_f64 v[226:227], v[74:75], s[0:1], v[228:229]
	v_add_f64 v[74:75], v[232:233], v[32:33]
	s_waitcnt vmcnt(0)
	ds_write_b128 v28, v[0:3]
	ds_write_b128 v28, v[12:15] offset:64
	ds_write_b128 v28, v[20:23] offset:128
	buffer_load_dword v0, off, s[36:39], 0 offset:236 ; 4-byte Folded Reload
	v_add_f64 v[72:73], v[86:87], v[30:31]
	v_fma_f64 v[84:85], v[234:235], s[0:1], v[40:41]
	v_fma_f64 v[88:89], v[234:235], s[2:3], v[40:41]
	v_fma_f64 v[86:87], v[236:237], s[2:3], v[230:231]
	v_fma_f64 v[90:91], v[236:237], s[0:1], v[230:231]
	s_waitcnt vmcnt(0)
	ds_write_b128 v0, v[4:7]
	ds_write_b128 v0, v[24:27] offset:64
	ds_write_b128 v0, v[92:95] offset:128
	buffer_load_dword v0, off, s[36:39], 0 offset:224 ; 4-byte Folded Reload
	s_waitcnt vmcnt(0)
	ds_write_b128 v0, v[8:11]
	ds_write_b128 v0, v[96:99] offset:64
	ds_write_b128 v0, v[100:103] offset:128
	buffer_load_dword v0, off, s[36:39], 0 offset:216 ; 4-byte Folded Reload
	s_waitcnt vmcnt(0)
	ds_write_b128 v0, v[168:171]
	ds_write_b128 v0, v[220:223] offset:64
	ds_write_b128 v0, v[224:227] offset:128
	s_and_saveexec_b32 s0, vcc_lo
	s_cbranch_execz .LBB0_13
; %bb.12:
	buffer_load_dword v0, off, s[36:39], 0 offset:304 ; 4-byte Folded Reload
	v_and_b32_e32 v1, 3, v17
	s_waitcnt vmcnt(0)
	v_mul_u32_u24_e32 v0, 12, v0
	v_or_b32_e32 v0, v0, v1
	v_lshlrev_b32_e32 v0, 4, v0
	ds_write_b128 v0, v[72:75]
	ds_write_b128 v0, v[84:87] offset:64
	ds_write_b128 v0, v[88:91] offset:128
.LBB0_13:
	s_or_b32 exec_lo, exec_lo, s0
	s_waitcnt lgkmcnt(0)
	s_barrier
	buffer_gl0_inv
	ds_read_b128 v[168:171], v16
	ds_read_b128 v[100:103], v16 offset:2016
	ds_read_b128 v[232:235], v16 offset:9408
	;; [unrolled: 1-line block ×11, first 2 shown]
	s_and_saveexec_b32 s0, vcc_lo
	s_cbranch_execz .LBB0_15
; %bb.14:
	ds_read_b128 v[72:75], v16 offset:8064
	ds_read_b128 v[84:87], v16 offset:17472
	;; [unrolled: 1-line block ×3, first 2 shown]
.LBB0_15:
	s_or_b32 exec_lo, exec_lo, s0
	s_waitcnt lgkmcnt(6)
	v_mul_f64 v[32:33], v[66:67], v[14:15]
	v_mul_f64 v[34:35], v[66:67], v[12:13]
	;; [unrolled: 1-line block ×6, first 2 shown]
	s_waitcnt lgkmcnt(1)
	v_mul_f64 v[38:39], v[106:107], v[4:5]
	s_waitcnt lgkmcnt(0)
	v_mul_f64 v[42:43], v[110:111], v[220:221]
	v_mul_f64 v[36:37], v[106:107], v[6:7]
	v_mul_f64 v[40:41], v[118:119], v[0:1]
	v_mul_f64 v[22:23], v[58:59], v[232:233]
	v_mul_f64 v[26:27], v[62:63], v[228:229]
	s_mov_b32 s0, 0xe8584caa
	s_mov_b32 s1, 0xbfebb67a
	;; [unrolled: 1-line block ×3, first 2 shown]
	s_barrier
	buffer_gl0_inv
	v_fma_f64 v[12:13], v[64:65], v[12:13], v[32:33]
	v_fma_f64 v[14:15], v[64:65], v[14:15], -v[34:35]
	v_mul_f64 v[32:33], v[114:115], v[10:11]
	v_mul_f64 v[34:35], v[114:115], v[8:9]
	v_fma_f64 v[30:31], v[68:69], v[226:227], -v[30:31]
	v_fma_f64 v[20:21], v[56:57], v[232:233], v[20:21]
	v_fma_f64 v[24:25], v[60:61], v[228:229], v[24:25]
	;; [unrolled: 1-line block ×3, first 2 shown]
	v_fma_f64 v[38:39], v[104:105], v[6:7], -v[38:39]
	v_fma_f64 v[36:37], v[104:105], v[4:5], v[36:37]
	v_fma_f64 v[22:23], v[56:57], v[234:235], -v[22:23]
	v_fma_f64 v[26:27], v[60:61], v[230:231], -v[26:27]
	v_fma_f64 v[8:9], v[112:113], v[8:9], v[32:33]
	v_fma_f64 v[10:11], v[112:113], v[10:11], -v[34:35]
	v_mul_f64 v[32:33], v[118:119], v[2:3]
	v_mul_f64 v[34:35], v[110:111], v[222:223]
	v_fma_f64 v[2:3], v[116:117], v[2:3], -v[40:41]
	v_add_f64 v[4:5], v[20:21], v[24:25]
	v_add_f64 v[40:41], v[28:29], v[12:13]
	;; [unrolled: 1-line block ×3, first 2 shown]
	v_add_f64 v[28:29], v[28:29], -v[12:13]
	v_add_f64 v[6:7], v[22:23], v[26:27]
	v_add_f64 v[56:57], v[168:169], v[20:21]
	;; [unrolled: 1-line block ×3, first 2 shown]
	v_add_f64 v[22:23], v[22:23], -v[26:27]
	v_add_f64 v[64:65], v[102:103], v[30:31]
	v_add_f64 v[44:45], v[8:9], v[36:37]
	;; [unrolled: 1-line block ×3, first 2 shown]
	v_fma_f64 v[0:1], v[116:117], v[0:1], v[32:33]
	v_fma_f64 v[32:33], v[108:109], v[220:221], v[34:35]
	v_fma_f64 v[34:35], v[108:109], v[222:223], -v[42:43]
	v_add_f64 v[42:43], v[30:31], v[14:15]
	v_fma_f64 v[68:69], v[4:5], -0.5, v[168:169]
	v_add_f64 v[106:107], v[94:95], v[10:11]
	v_add_f64 v[4:5], v[62:63], v[12:13]
	v_fma_f64 v[70:71], v[6:7], -0.5, v[170:171]
	v_add_f64 v[108:109], v[20:21], -v[24:25]
	v_fma_f64 v[40:41], v[40:41], -0.5, v[100:101]
	v_add_f64 v[30:31], v[30:31], -v[14:15]
	v_add_f64 v[6:7], v[64:65], v[14:15]
	v_add_f64 v[104:105], v[92:93], v[8:9]
	v_add_f64 v[110:111], v[10:11], -v[38:39]
	v_add_f64 v[112:113], v[8:9], -v[36:37]
	v_fma_f64 v[44:45], v[44:45], -0.5, v[92:93]
	v_fma_f64 v[46:47], v[46:47], -0.5, v[94:95]
	v_add_f64 v[100:101], v[96:97], v[0:1]
	v_add_f64 v[58:59], v[0:1], v[32:33]
	;; [unrolled: 1-line block ×3, first 2 shown]
	v_fma_f64 v[42:43], v[42:43], -0.5, v[102:103]
	v_add_f64 v[102:103], v[98:99], v[2:3]
	v_add_f64 v[114:115], v[2:3], -v[34:35]
	v_add_f64 v[116:117], v[0:1], -v[32:33]
	v_add_f64 v[0:1], v[56:57], v[24:25]
	v_add_f64 v[2:3], v[60:61], v[26:27]
	v_fma_f64 v[20:21], v[22:23], s[0:1], v[68:69]
	v_fma_f64 v[24:25], v[22:23], s[2:3], v[68:69]
	;; [unrolled: 1-line block ×6, first 2 shown]
	v_add_f64 v[8:9], v[104:105], v[36:37]
	v_add_f64 v[10:11], v[106:107], v[38:39]
	v_fma_f64 v[64:65], v[110:111], s[0:1], v[44:45]
	v_fma_f64 v[68:69], v[110:111], s[2:3], v[44:45]
	;; [unrolled: 1-line block ×3, first 2 shown]
	v_fma_f64 v[94:95], v[58:59], -0.5, v[96:97]
	v_fma_f64 v[98:99], v[66:67], -0.5, v[98:99]
	v_fma_f64 v[58:59], v[28:29], s[2:3], v[42:43]
	v_fma_f64 v[62:63], v[28:29], s[0:1], v[42:43]
	buffer_load_dword v28, off, s[36:39], 0 offset:260 ; 4-byte Folded Reload
	v_fma_f64 v[66:67], v[112:113], s[2:3], v[46:47]
	v_add_f64 v[12:13], v[100:101], v[32:33]
	v_add_f64 v[14:15], v[102:103], v[34:35]
	s_waitcnt vmcnt(0)
	ds_write_b128 v28, v[0:3]
	ds_write_b128 v28, v[20:23] offset:192
	ds_write_b128 v28, v[24:27] offset:384
	buffer_load_dword v0, off, s[36:39], 0 offset:268 ; 4-byte Folded Reload
	v_fma_f64 v[92:93], v[114:115], s[0:1], v[94:95]
	v_fma_f64 v[96:97], v[114:115], s[2:3], v[94:95]
	;; [unrolled: 1-line block ×4, first 2 shown]
	s_waitcnt vmcnt(0)
	ds_write_b128 v0, v[4:7]
	ds_write_b128 v0, v[56:59] offset:192
	ds_write_b128 v0, v[60:63] offset:384
	buffer_load_dword v0, off, s[36:39], 0 offset:284 ; 4-byte Folded Reload
	s_waitcnt vmcnt(0)
	ds_write_b128 v0, v[8:11]
	ds_write_b128 v0, v[64:67] offset:192
	ds_write_b128 v0, v[68:71] offset:384
	buffer_load_dword v0, off, s[36:39], 0 offset:300 ; 4-byte Folded Reload
	s_waitcnt vmcnt(0)
	ds_write_b128 v0, v[12:15]
	ds_write_b128 v0, v[92:95] offset:192
	ds_write_b128 v0, v[96:99] offset:384
	s_and_saveexec_b32 s6, vcc_lo
	s_cbranch_execz .LBB0_17
; %bb.16:
	v_mul_f64 v[0:1], v[78:79], v[84:85]
	v_mul_f64 v[2:3], v[82:83], v[88:89]
	;; [unrolled: 1-line block ×4, first 2 shown]
	v_fma_f64 v[0:1], v[76:77], v[86:87], -v[0:1]
	v_fma_f64 v[2:3], v[80:81], v[90:91], -v[2:3]
	v_fma_f64 v[4:5], v[76:77], v[84:85], v[4:5]
	v_fma_f64 v[6:7], v[80:81], v[88:89], v[6:7]
	v_add_f64 v[14:15], v[74:75], v[0:1]
	v_add_f64 v[8:9], v[0:1], v[2:3]
	v_add_f64 v[20:21], v[0:1], -v[2:3]
	v_add_f64 v[10:11], v[4:5], v[6:7]
	v_add_f64 v[12:13], v[4:5], -v[6:7]
	v_add_f64 v[4:5], v[72:73], v[4:5]
	v_add_f64 v[2:3], v[14:15], v[2:3]
	v_fma_f64 v[8:9], v[8:9], -0.5, v[74:75]
	v_fma_f64 v[22:23], v[10:11], -0.5, v[72:73]
	v_add_f64 v[0:1], v[4:5], v[6:7]
	v_fma_f64 v[6:7], v[12:13], s[0:1], v[8:9]
	v_fma_f64 v[10:11], v[12:13], s[2:3], v[8:9]
	buffer_load_dword v13, off, s[36:39], 0 offset:296 ; 4-byte Folded Reload
	v_fma_f64 v[8:9], v[20:21], s[0:1], v[22:23]
	v_fma_f64 v[4:5], v[20:21], s[2:3], v[22:23]
	v_mov_b32_e32 v12, 4
	s_waitcnt vmcnt(0)
	v_lshlrev_b32_sdwa v12, v12, v13 dst_sel:DWORD dst_unused:UNUSED_PAD src0_sel:DWORD src1_sel:WORD_0
	ds_write_b128 v12, v[0:3]
	ds_write_b128 v12, v[8:11] offset:192
	ds_write_b128 v12, v[4:7] offset:384
.LBB0_17:
	s_or_b32 exec_lo, exec_lo, s6
	s_waitcnt lgkmcnt(0)
	s_barrier
	buffer_gl0_inv
	ds_read_b128 v[0:3], v16 offset:4032
	ds_read_b128 v[4:7], v16 offset:8064
	;; [unrolled: 1-line block ×10, first 2 shown]
	ds_read_b128 v[72:75], v16
	ds_read_b128 v[76:79], v16 offset:2016
	ds_read_b128 v[80:83], v16 offset:14112
	;; [unrolled: 1-line block ×3, first 2 shown]
	s_mov_b32 s6, 0x37e14327
	s_mov_b32 s0, 0x36b3c0b5
	;; [unrolled: 1-line block ×9, first 2 shown]
	s_waitcnt lgkmcnt(13)
	v_mul_f64 v[28:29], v[134:135], v[2:3]
	v_mul_f64 v[30:31], v[134:135], v[0:1]
	s_waitcnt lgkmcnt(12)
	v_mul_f64 v[32:33], v[130:131], v[6:7]
	v_mul_f64 v[34:35], v[130:131], v[4:5]
	s_waitcnt lgkmcnt(11)
	v_mul_f64 v[36:37], v[142:143], v[10:11]
	s_waitcnt lgkmcnt(10)
	v_mul_f64 v[38:39], v[138:139], v[14:15]
	v_mul_f64 v[40:41], v[138:139], v[12:13]
	;; [unrolled: 1-line block ×3, first 2 shown]
	s_waitcnt lgkmcnt(9)
	v_mul_f64 v[44:45], v[126:127], v[22:23]
	v_mul_f64 v[46:47], v[126:127], v[20:21]
	s_waitcnt lgkmcnt(8)
	v_mul_f64 v[88:89], v[122:123], v[26:27]
	v_mul_f64 v[90:91], v[122:123], v[24:25]
	;; [unrolled: 3-line block ×3, first 2 shown]
	s_waitcnt lgkmcnt(0)
	v_mul_f64 v[98:99], v[146:147], v[84:85]
	s_mov_b32 s18, s16
	s_mov_b32 s21, 0xbfd5d0dc
	;; [unrolled: 1-line block ×7, first 2 shown]
	v_fma_f64 v[0:1], v[132:133], v[0:1], v[28:29]
	v_fma_f64 v[2:3], v[132:133], v[2:3], -v[30:31]
	v_fma_f64 v[4:5], v[128:129], v[4:5], v[32:33]
	v_fma_f64 v[6:7], v[128:129], v[6:7], -v[34:35]
	v_fma_f64 v[8:9], v[140:141], v[8:9], v[36:37]
	v_fma_f64 v[12:13], v[136:137], v[12:13], v[38:39]
	v_fma_f64 v[14:15], v[136:137], v[14:15], -v[40:41]
	v_fma_f64 v[10:11], v[140:141], v[10:11], -v[42:43]
	v_mul_f64 v[28:29], v[158:159], v[58:59]
	v_mul_f64 v[30:31], v[158:159], v[56:57]
	;; [unrolled: 1-line block ×8, first 2 shown]
	v_fma_f64 v[20:21], v[124:125], v[20:21], v[44:45]
	v_fma_f64 v[22:23], v[124:125], v[22:23], -v[46:47]
	v_fma_f64 v[24:25], v[120:121], v[24:25], v[88:89]
	v_fma_f64 v[26:27], v[120:121], v[26:27], -v[90:91]
	v_mul_f64 v[44:45], v[146:147], v[86:87]
	s_mov_b32 s25, 0xbfdc38aa
	s_barrier
	buffer_gl0_inv
	v_add_f64 v[90:91], v[4:5], v[8:9]
	v_add_f64 v[46:47], v[0:1], v[12:13]
	;; [unrolled: 1-line block ×4, first 2 shown]
	v_fma_f64 v[28:29], v[156:157], v[56:57], v[28:29]
	v_fma_f64 v[30:31], v[156:157], v[58:59], -v[30:31]
	v_fma_f64 v[32:33], v[152:153], v[60:61], v[32:33]
	v_fma_f64 v[34:35], v[152:153], v[62:63], -v[34:35]
	;; [unrolled: 2-line block ×5, first 2 shown]
	v_add_f64 v[60:61], v[20:21], v[24:25]
	v_add_f64 v[62:63], v[22:23], v[26:27]
	v_fma_f64 v[44:45], v[144:145], v[84:85], v[44:45]
	v_fma_f64 v[68:69], v[144:145], v[86:87], -v[98:99]
	v_add_f64 v[4:5], v[4:5], -v[8:9]
	v_add_f64 v[6:7], v[6:7], -v[10:11]
	;; [unrolled: 1-line block ×5, first 2 shown]
	v_add_f64 v[64:65], v[90:91], v[46:47]
	v_add_f64 v[14:15], v[2:3], -v[14:15]
	v_add_f64 v[66:67], v[96:97], v[88:89]
	v_add_f64 v[20:21], v[28:29], v[36:37]
	v_add_f64 v[22:23], v[30:31], v[38:39]
	v_add_f64 v[24:25], v[28:29], -v[36:37]
	v_add_f64 v[26:27], v[30:31], -v[38:39]
	v_add_f64 v[28:29], v[32:33], v[56:57]
	v_add_f64 v[30:31], v[34:35], v[58:59]
	v_add_f64 v[32:33], v[32:33], -v[56:57]
	v_add_f64 v[34:35], v[34:35], -v[58:59]
	;; [unrolled: 1-line block ×6, first 2 shown]
	v_add_f64 v[56:57], v[40:41], v[44:45]
	v_add_f64 v[40:41], v[44:45], -v[40:41]
	v_add_f64 v[44:45], v[8:9], -v[4:5]
	v_add_f64 v[58:59], v[60:61], v[64:65]
	v_add_f64 v[64:65], v[10:11], -v[6:7]
	v_add_f64 v[60:61], v[62:63], v[66:67]
	v_add_f64 v[62:63], v[42:43], v[68:69]
	v_add_f64 v[42:43], v[68:69], -v[42:43]
	v_add_f64 v[68:69], v[8:9], v[4:5]
	v_add_f64 v[70:71], v[10:11], v[6:7]
	v_add_f64 v[4:5], v[4:5], -v[12:13]
	v_add_f64 v[84:85], v[6:7], -v[14:15]
	;; [unrolled: 1-line block ×4, first 2 shown]
	v_add_f64 v[80:81], v[28:29], v[20:21]
	v_add_f64 v[82:83], v[30:31], v[22:23]
	v_add_f64 v[8:9], v[12:13], -v[8:9]
	v_add_f64 v[100:101], v[32:33], -v[24:25]
	v_mul_f64 v[6:7], v[0:1], s[6:7]
	v_mul_f64 v[86:87], v[2:3], s[6:7]
	;; [unrolled: 1-line block ×4, first 2 shown]
	v_add_f64 v[92:93], v[20:21], -v[56:57]
	v_add_f64 v[96:97], v[40:41], -v[32:33]
	v_mul_f64 v[44:45], v[44:45], s[12:13]
	v_add_f64 v[0:1], v[72:73], v[58:59]
	v_add_f64 v[102:103], v[34:35], -v[26:27]
	v_add_f64 v[2:3], v[74:75], v[60:61]
	v_add_f64 v[72:73], v[22:23], -v[62:63]
	v_add_f64 v[74:75], v[56:57], -v[28:29]
	;; [unrolled: 1-line block ×5, first 2 shown]
	v_mul_f64 v[64:65], v[64:65], s[12:13]
	v_add_f64 v[12:13], v[68:69], v[12:13]
	v_add_f64 v[14:15], v[70:71], v[14:15]
	v_add_f64 v[56:57], v[56:57], v[80:81]
	v_add_f64 v[62:63], v[62:63], v[82:83]
	v_mul_f64 v[68:69], v[4:5], s[2:3]
	v_mul_f64 v[70:71], v[84:85], s[2:3]
	v_fma_f64 v[36:37], v[36:37], s[0:1], v[6:7]
	v_fma_f64 v[38:39], v[38:39], s[0:1], v[86:87]
	v_fma_f64 v[80:81], v[46:47], s[16:17], -v[88:89]
	v_fma_f64 v[82:83], v[66:67], s[16:17], -v[90:91]
	;; [unrolled: 1-line block ×4, first 2 shown]
	v_fma_f64 v[86:87], v[8:9], s[20:21], v[44:45]
	v_fma_f64 v[44:45], v[4:5], s[2:3], -v[44:45]
	v_add_f64 v[20:21], v[28:29], -v[20:21]
	v_add_f64 v[22:23], v[30:31], -v[22:23]
	v_add_f64 v[28:29], v[40:41], v[32:33]
	v_add_f64 v[30:31], v[42:43], v[34:35]
	v_mul_f64 v[32:33], v[92:93], s[6:7]
	v_mul_f64 v[34:35], v[72:73], s[6:7]
	;; [unrolled: 1-line block ×3, first 2 shown]
	v_add_f64 v[40:41], v[24:25], -v[40:41]
	v_add_f64 v[42:43], v[26:27], -v[42:43]
	v_mul_f64 v[90:91], v[96:97], s[12:13]
	v_add_f64 v[4:5], v[76:77], v[56:57]
	v_add_f64 v[6:7], v[78:79], v[62:63]
	v_mul_f64 v[76:77], v[94:95], s[0:1]
	v_mul_f64 v[78:79], v[98:99], s[12:13]
	v_mul_f64 v[92:93], v[102:103], s[2:3]
	v_mul_f64 v[96:97], v[100:101], s[2:3]
	v_fma_f64 v[58:59], v[58:59], s[14:15], v[0:1]
	v_fma_f64 v[60:61], v[60:61], s[14:15], v[2:3]
	v_fma_f64 v[88:89], v[10:11], s[20:21], v[64:65]
	v_fma_f64 v[8:9], v[8:9], s[22:23], -v[68:69]
	v_fma_f64 v[10:11], v[10:11], s[22:23], -v[70:71]
	;; [unrolled: 1-line block ×3, first 2 shown]
	v_fma_f64 v[44:45], v[12:13], s[24:25], v[44:45]
	v_add_f64 v[24:25], v[28:29], v[24:25]
	v_add_f64 v[26:27], v[30:31], v[26:27]
	v_fma_f64 v[72:73], v[20:21], s[16:17], -v[72:73]
	v_fma_f64 v[20:21], v[20:21], s[18:19], -v[32:33]
	v_fma_f64 v[28:29], v[56:57], s[14:15], v[4:5]
	v_fma_f64 v[30:31], v[62:63], s[14:15], v[6:7]
	;; [unrolled: 1-line block ×4, first 2 shown]
	v_fma_f64 v[74:75], v[22:23], s[16:17], -v[76:77]
	v_fma_f64 v[22:23], v[22:23], s[18:19], -v[34:35]
	v_fma_f64 v[32:33], v[42:43], s[20:21], v[78:79]
	v_fma_f64 v[34:35], v[40:41], s[20:21], v[90:91]
	v_fma_f64 v[42:43], v[42:43], s[22:23], -v[92:93]
	v_fma_f64 v[40:41], v[40:41], s[22:23], -v[96:97]
	;; [unrolled: 1-line block ×4, first 2 shown]
	v_add_f64 v[36:37], v[36:37], v[58:59]
	v_add_f64 v[38:39], v[38:39], v[60:61]
	;; [unrolled: 1-line block ×6, first 2 shown]
	v_fma_f64 v[60:61], v[14:15], s[24:25], v[88:89]
	v_fma_f64 v[66:67], v[12:13], s[24:25], v[86:87]
	;; [unrolled: 1-line block ×5, first 2 shown]
	v_add_f64 v[88:89], v[72:73], v[28:29]
	v_add_f64 v[84:85], v[56:57], v[28:29]
	;; [unrolled: 1-line block ×5, first 2 shown]
	v_fma_f64 v[32:33], v[26:27], s[24:25], v[32:33]
	v_fma_f64 v[34:35], v[24:25], s[24:25], v[34:35]
	v_add_f64 v[30:31], v[22:23], v[30:31]
	v_fma_f64 v[42:43], v[26:27], s[24:25], v[42:43]
	v_fma_f64 v[40:41], v[24:25], s[24:25], v[40:41]
	;; [unrolled: 1-line block ×4, first 2 shown]
	v_add_f64 v[22:23], v[44:45], v[70:71]
	v_add_f64 v[26:27], v[70:71], -v[44:45]
	v_add_f64 v[8:9], v[60:61], v[36:37]
	v_add_f64 v[10:11], v[38:39], -v[66:67]
	;; [unrolled: 2-line block ×3, first 2 shown]
	v_add_f64 v[20:21], v[68:69], -v[64:65]
	v_add_f64 v[24:25], v[64:65], v[68:69]
	v_add_f64 v[56:57], v[46:47], -v[80:81]
	v_add_f64 v[58:59], v[82:83], v[58:59]
	v_add_f64 v[60:61], v[36:37], -v[60:61]
	v_add_f64 v[62:63], v[66:67], v[38:39]
	v_add_f64 v[64:65], v[32:33], v[84:85]
	v_add_f64 v[66:67], v[86:87], -v[34:35]
	v_add_f64 v[84:85], v[84:85], -v[32:33]
	v_add_f64 v[68:69], v[42:43], v[28:29]
	v_add_f64 v[70:71], v[30:31], -v[40:41]
	v_add_f64 v[72:73], v[88:89], -v[76:77]
	v_add_f64 v[74:75], v[78:79], v[90:91]
	v_add_f64 v[76:77], v[76:77], v[88:89]
	v_add_f64 v[78:79], v[90:91], -v[78:79]
	v_add_f64 v[80:81], v[28:29], -v[42:43]
	v_add_f64 v[82:83], v[40:41], v[30:31]
	v_add_f64 v[86:87], v[34:35], v[86:87]
	ds_write_b128 v19, v[0:3]
	ds_write_b128 v19, v[8:11] offset:576
	ds_write_b128 v19, v[12:15] offset:1152
	ds_write_b128 v19, v[20:23] offset:1728
	ds_write_b128 v19, v[24:27] offset:2304
	ds_write_b128 v19, v[56:59] offset:2880
	ds_write_b128 v19, v[60:63] offset:3456
	ds_write_b128 v18, v[4:7]
	ds_write_b128 v18, v[64:67] offset:576
	ds_write_b128 v18, v[68:71] offset:1152
	;; [unrolled: 1-line block ×6, first 2 shown]
	s_waitcnt lgkmcnt(0)
	s_barrier
	buffer_gl0_inv
	ds_read_b128 v[0:3], v16 offset:4032
	ds_read_b128 v[4:7], v16 offset:8064
	;; [unrolled: 1-line block ×12, first 2 shown]
	s_waitcnt lgkmcnt(11)
	v_mul_f64 v[26:27], v[182:183], v[2:3]
	v_mul_f64 v[28:29], v[182:183], v[0:1]
	s_waitcnt lgkmcnt(10)
	v_mul_f64 v[30:31], v[186:187], v[6:7]
	v_mul_f64 v[32:33], v[186:187], v[4:5]
	;; [unrolled: 3-line block ×7, first 2 shown]
	v_fma_f64 v[0:1], v[180:181], v[0:1], v[26:27]
	v_fma_f64 v[2:3], v[180:181], v[2:3], -v[28:29]
	v_fma_f64 v[4:5], v[184:185], v[4:5], v[30:31]
	v_fma_f64 v[6:7], v[184:185], v[6:7], -v[32:33]
	;; [unrolled: 2-line block ×4, first 2 shown]
	v_mul_f64 v[26:27], v[210:211], v[58:59]
	v_mul_f64 v[28:29], v[210:211], v[56:57]
	;; [unrolled: 1-line block ×8, first 2 shown]
	v_fma_f64 v[18:19], v[176:177], v[18:19], v[42:43]
	v_fma_f64 v[20:21], v[176:177], v[20:21], -v[44:45]
	v_fma_f64 v[22:23], v[172:173], v[22:23], v[46:47]
	v_fma_f64 v[24:25], v[172:173], v[24:25], -v[80:81]
	v_add_f64 v[42:43], v[0:1], v[8:9]
	v_add_f64 v[44:45], v[2:3], v[10:11]
	;; [unrolled: 1-line block ×4, first 2 shown]
	v_fma_f64 v[26:27], v[208:209], v[56:57], v[26:27]
	v_fma_f64 v[28:29], v[208:209], v[58:59], -v[28:29]
	s_waitcnt lgkmcnt(0)
	v_mul_f64 v[56:57], v[198:199], v[78:79]
	v_mul_f64 v[58:59], v[198:199], v[76:77]
	v_fma_f64 v[30:31], v[204:205], v[60:61], v[30:31]
	v_fma_f64 v[32:33], v[204:205], v[62:63], -v[32:33]
	v_fma_f64 v[34:35], v[216:217], v[68:69], v[34:35]
	v_fma_f64 v[36:37], v[216:217], v[70:71], -v[36:37]
	;; [unrolled: 2-line block ×3, first 2 shown]
	v_add_f64 v[60:61], v[18:19], v[22:23]
	v_add_f64 v[62:63], v[20:21], v[24:25]
	v_fma_f64 v[68:69], v[200:201], v[72:73], v[82:83]
	v_fma_f64 v[70:71], v[200:201], v[74:75], -v[84:85]
	v_add_f64 v[12:13], v[4:5], -v[12:13]
	v_add_f64 v[14:15], v[6:7], -v[14:15]
	;; [unrolled: 1-line block ×6, first 2 shown]
	v_add_f64 v[64:65], v[46:47], v[42:43]
	v_add_f64 v[66:67], v[80:81], v[44:45]
	ds_read_b128 v[0:3], v16
	ds_read_b128 v[4:7], v16 offset:2016
	v_fma_f64 v[22:23], v[196:197], v[76:77], v[56:57]
	v_fma_f64 v[24:25], v[196:197], v[78:79], -v[58:59]
	v_add_f64 v[76:77], v[46:47], -v[42:43]
	v_add_f64 v[78:79], v[80:81], -v[44:45]
	v_add_f64 v[56:57], v[26:27], v[34:35]
	v_add_f64 v[58:59], v[28:29], v[36:37]
	;; [unrolled: 1-line block ×4, first 2 shown]
	v_add_f64 v[42:43], v[42:43], -v[60:61]
	v_add_f64 v[44:45], v[44:45], -v[62:63]
	;; [unrolled: 1-line block ×9, first 2 shown]
	v_add_f64 v[64:65], v[60:61], v[64:65]
	v_add_f64 v[66:67], v[62:63], v[66:67]
	v_add_f64 v[60:61], v[62:63], -v[80:81]
	v_add_f64 v[80:81], v[20:21], v[14:15]
	v_add_f64 v[86:87], v[68:69], v[22:23]
	;; [unrolled: 1-line block ×3, first 2 shown]
	v_add_f64 v[24:25], v[24:25], -v[70:71]
	v_add_f64 v[22:23], v[22:23], -v[68:69]
	v_add_f64 v[62:63], v[18:19], v[12:13]
	v_add_f64 v[12:13], v[12:13], -v[8:9]
	v_add_f64 v[90:91], v[72:73], v[56:57]
	v_add_f64 v[92:93], v[74:75], v[58:59]
	v_add_f64 v[14:15], v[14:15], -v[10:11]
	v_add_f64 v[20:21], v[10:11], -v[20:21]
	v_mul_f64 v[34:35], v[42:43], s[6:7]
	v_mul_f64 v[36:37], v[44:45], s[6:7]
	v_mul_f64 v[38:39], v[46:47], s[0:1]
	v_add_f64 v[94:95], v[32:33], -v[28:29]
	v_mul_f64 v[42:43], v[82:83], s[12:13]
	v_mul_f64 v[44:45], v[84:85], s[12:13]
	v_add_f64 v[96:97], v[30:31], -v[26:27]
	v_add_f64 v[18:19], v[8:9], -v[18:19]
	s_waitcnt lgkmcnt(1)
	v_add_f64 v[0:1], v[0:1], v[64:65]
	v_add_f64 v[2:3], v[2:3], v[66:67]
	v_mul_f64 v[40:41], v[60:61], s[0:1]
	v_add_f64 v[10:11], v[80:81], v[10:11]
	v_add_f64 v[82:83], v[56:57], -v[86:87]
	v_add_f64 v[84:85], v[58:59], -v[88:89]
	;; [unrolled: 1-line block ×4, first 2 shown]
	v_add_f64 v[8:9], v[62:63], v[8:9]
	v_mul_f64 v[62:63], v[12:13], s[2:3]
	v_add_f64 v[70:71], v[86:87], v[90:91]
	v_add_f64 v[80:81], v[88:89], v[92:93]
	v_add_f64 v[86:87], v[86:87], -v[72:73]
	v_add_f64 v[90:91], v[24:25], -v[32:33]
	;; [unrolled: 1-line block ×4, first 2 shown]
	v_mul_f64 v[68:69], v[14:15], s[2:3]
	v_fma_f64 v[46:47], v[46:47], s[0:1], v[34:35]
	v_fma_f64 v[60:61], v[60:61], s[0:1], v[36:37]
	v_fma_f64 v[38:39], v[76:77], s[16:17], -v[38:39]
	v_fma_f64 v[34:35], v[76:77], s[18:19], -v[34:35]
	v_add_f64 v[30:31], v[22:23], v[30:31]
	v_fma_f64 v[64:65], v[64:65], s[14:15], v[0:1]
	v_fma_f64 v[66:67], v[66:67], s[14:15], v[2:3]
	v_add_f64 v[32:33], v[24:25], v[32:33]
	v_add_f64 v[22:23], v[26:27], -v[22:23]
	v_mul_f64 v[72:73], v[82:83], s[6:7]
	v_mul_f64 v[74:75], v[84:85], s[6:7]
	v_add_f64 v[24:25], v[28:29], -v[24:25]
	v_fma_f64 v[40:41], v[78:79], s[16:17], -v[40:41]
	v_fma_f64 v[36:37], v[78:79], s[18:19], -v[36:37]
	v_fma_f64 v[98:99], v[18:19], s[20:21], v[42:43]
	s_waitcnt lgkmcnt(0)
	v_add_f64 v[4:5], v[4:5], v[70:71]
	v_add_f64 v[6:7], v[6:7], v[80:81]
	v_mul_f64 v[76:77], v[86:87], s[0:1]
	v_mul_f64 v[82:83], v[90:91], s[12:13]
	;; [unrolled: 1-line block ×6, first 2 shown]
	v_fma_f64 v[100:101], v[20:21], s[20:21], v[44:45]
	v_fma_f64 v[18:19], v[18:19], s[22:23], -v[62:63]
	v_fma_f64 v[20:21], v[20:21], s[22:23], -v[68:69]
	;; [unrolled: 1-line block ×4, first 2 shown]
	v_add_f64 v[42:43], v[46:47], v[64:65]
	v_add_f64 v[44:45], v[60:61], v[66:67]
	;; [unrolled: 1-line block ×4, first 2 shown]
	v_fma_f64 v[46:47], v[86:87], s[0:1], v[72:73]
	v_fma_f64 v[60:61], v[88:89], s[0:1], v[74:75]
	v_add_f64 v[38:39], v[38:39], v[64:65]
	v_add_f64 v[40:41], v[40:41], v[66:67]
	;; [unrolled: 1-line block ×3, first 2 shown]
	v_fma_f64 v[30:31], v[70:71], s[14:15], v[4:5]
	v_fma_f64 v[32:33], v[80:81], s[14:15], v[6:7]
	v_fma_f64 v[62:63], v[56:57], s[16:17], -v[76:77]
	v_fma_f64 v[56:57], v[56:57], s[18:19], -v[72:73]
	v_fma_f64 v[70:71], v[24:25], s[20:21], v[82:83]
	v_fma_f64 v[72:73], v[22:23], s[20:21], v[84:85]
	v_fma_f64 v[68:69], v[58:59], s[16:17], -v[78:79]
	v_fma_f64 v[58:59], v[58:59], s[18:19], -v[74:75]
	;; [unrolled: 1-line block ×6, first 2 shown]
	v_add_f64 v[36:37], v[36:37], v[66:67]
	v_fma_f64 v[64:65], v[10:11], s[24:25], v[100:101]
	v_fma_f64 v[66:67], v[8:9], s[24:25], v[98:99]
	;; [unrolled: 1-line block ×6, first 2 shown]
	s_mov_b32 s0, 0x5bb804a5
	s_mov_b32 s1, 0x3f429372
	s_mul_i32 s2, s9, 0x3720
	v_add_f64 v[46:47], v[46:47], v[30:31]
	v_add_f64 v[86:87], v[60:61], v[32:33]
	;; [unrolled: 1-line block ×4, first 2 shown]
	v_fma_f64 v[92:93], v[28:29], s[24:25], v[70:71]
	v_fma_f64 v[94:95], v[26:27], s[24:25], v[72:73]
	v_add_f64 v[90:91], v[68:69], v[32:33]
	v_add_f64 v[32:33], v[58:59], v[32:33]
	v_fma_f64 v[96:97], v[28:29], s[24:25], v[24:25]
	v_fma_f64 v[98:99], v[26:27], s[24:25], v[22:23]
	v_fma_f64 v[28:29], v[28:29], s[24:25], v[74:75]
	v_fma_f64 v[26:27], v[26:27], s[24:25], v[76:77]
	s_mul_hi_u32 s3, s8, 0x3720
	v_add_f64 v[8:9], v[64:65], v[42:43]
	v_add_f64 v[10:11], v[44:45], -v[66:67]
	v_add_f64 v[12:13], v[78:79], v[34:35]
	v_add_f64 v[14:15], v[36:37], -v[80:81]
	v_add_f64 v[18:19], v[38:39], -v[82:83]
	v_add_f64 v[20:21], v[84:85], v[40:41]
	v_add_f64 v[22:23], v[82:83], v[38:39]
	v_add_f64 v[24:25], v[40:41], -v[84:85]
	v_add_f64 v[56:57], v[34:35], -v[78:79]
	v_add_f64 v[58:59], v[80:81], v[36:37]
	v_add_f64 v[60:61], v[42:43], -v[64:65]
	v_add_f64 v[62:63], v[66:67], v[44:45]
	s_add_i32 s3, s3, s2
	v_add_f64 v[64:65], v[92:93], v[46:47]
	v_add_f64 v[66:67], v[86:87], -v[94:95]
	v_add_f64 v[84:85], v[46:47], -v[92:93]
	v_add_f64 v[86:87], v[94:95], v[86:87]
	v_add_f64 v[68:69], v[96:97], v[30:31]
	v_add_f64 v[70:71], v[32:33], -v[98:99]
	v_add_f64 v[72:73], v[88:89], -v[28:29]
	v_add_f64 v[74:75], v[26:27], v[90:91]
	v_add_f64 v[76:77], v[28:29], v[88:89]
	v_add_f64 v[78:79], v[90:91], -v[26:27]
	v_add_f64 v[80:81], v[30:31], -v[96:97]
	v_add_f64 v[82:83], v[98:99], v[32:33]
	ds_write_b128 v16, v[0:3]
	ds_write_b128 v16, v[8:11] offset:4032
	ds_write_b128 v16, v[12:15] offset:8064
	;; [unrolled: 1-line block ×13, first 2 shown]
	s_waitcnt lgkmcnt(0)
	s_barrier
	buffer_gl0_inv
	ds_read_b128 v[0:3], v16
	ds_read_b128 v[4:7], v16 offset:2016
	s_clause 0x3
	buffer_load_dword v34, off, s[36:39], 0 offset:8
	buffer_load_dword v35, off, s[36:39], 0 offset:12
	;; [unrolled: 1-line block ×4, first 2 shown]
	ds_read_b128 v[8:11], v16 offset:14112
	s_clause 0x1
	buffer_load_dword v12, off, s[36:39], 0
	buffer_load_dword v13, off, s[36:39], 0 offset:4
	v_mad_u64_u32 v[32:33], null, s8, v17, 0
	s_mul_i32 s2, s8, 0x3720
	s_waitcnt vmcnt(2) lgkmcnt(2)
	v_mul_f64 v[18:19], v[36:37], v[2:3]
	v_mul_f64 v[22:23], v[36:37], v[0:1]
	s_waitcnt vmcnt(1)
	v_mov_b32_e32 v25, v12
	s_waitcnt vmcnt(0)
	ds_read_b128 v[12:15], v16 offset:16128
	v_mad_u64_u32 v[26:27], null, s10, v25, 0
	v_mov_b32_e32 v24, v27
	v_fma_f64 v[28:29], v[34:35], v[0:1], v[18:19]
	ds_read_b128 v[18:21], v16 offset:12096
	s_clause 0x7
	buffer_load_dword v66, off, s[36:39], 0 offset:136
	buffer_load_dword v67, off, s[36:39], 0 offset:140
	;; [unrolled: 1-line block ×8, first 2 shown]
	v_fma_f64 v[34:35], v[34:35], v[2:3], -v[22:23]
	ds_read_b128 v[0:3], v16 offset:18144
	v_mad_u64_u32 v[22:23], null, s11, v25, v[24:25]
	v_mov_b32_e32 v23, v33
	v_mad_u64_u32 v[46:47], null, s9, v17, v[23:24]
	v_mov_b32_e32 v27, v22
	v_lshlrev_b64 v[26:27], 4, v[26:27]
	v_mov_b32_e32 v33, v46
	v_mul_f64 v[56:57], v[28:29], s[0:1]
	v_add_co_u32 v17, vcc_lo, s4, v26
	v_mul_f64 v[58:59], v[34:35], s[0:1]
	v_add_co_ci_u32_e32 v46, vcc_lo, s5, v27, vcc_lo
	v_lshlrev_b64 v[26:27], 4, v[32:33]
	s_mul_hi_u32 s4, s8, 0xffffd0c0
	s_mul_i32 s5, s9, 0xffffd0c0
	s_sub_i32 s4, s4, s8
	s_add_i32 s4, s4, s5
	s_mul_i32 s5, s8, 0xffffd0c0
	s_waitcnt vmcnt(4) lgkmcnt(3)
	v_mul_f64 v[30:31], v[68:69], v[10:11]
	s_waitcnt vmcnt(0)
	v_mul_f64 v[38:39], v[62:63], v[6:7]
	v_mul_f64 v[40:41], v[62:63], v[4:5]
	s_clause 0x3
	buffer_load_dword v62, off, s[36:39], 0 offset:120
	buffer_load_dword v63, off, s[36:39], 0 offset:124
	;; [unrolled: 1-line block ×4, first 2 shown]
	v_mul_f64 v[36:37], v[68:69], v[8:9]
	ds_read_b128 v[22:25], v16 offset:4032
	v_fma_f64 v[8:9], v[66:67], v[8:9], v[30:31]
	v_fma_f64 v[28:29], v[60:61], v[4:5], v[38:39]
	v_fma_f64 v[30:31], v[60:61], v[6:7], -v[40:41]
	ds_read_b128 v[4:7], v16 offset:6048
	v_fma_f64 v[10:11], v[66:67], v[10:11], -v[36:37]
	v_add_co_u32 v38, vcc_lo, v17, v26
	v_add_co_ci_u32_e32 v39, vcc_lo, v46, v27, vcc_lo
	v_add_co_u32 v46, vcc_lo, v38, s2
	v_add_co_ci_u32_e32 v47, vcc_lo, s3, v39, vcc_lo
	v_mul_f64 v[8:9], v[8:9], s[0:1]
	v_mul_f64 v[10:11], v[10:11], s[0:1]
	s_waitcnt vmcnt(0) lgkmcnt(4)
	v_mul_f64 v[42:43], v[64:65], v[14:15]
	v_mul_f64 v[44:45], v[64:65], v[12:13]
	v_fma_f64 v[32:33], v[62:63], v[12:13], v[42:43]
	v_fma_f64 v[34:35], v[62:63], v[14:15], -v[44:45]
	s_clause 0x3
	buffer_load_dword v60, off, s[36:39], 0 offset:88
	buffer_load_dword v61, off, s[36:39], 0 offset:92
	;; [unrolled: 1-line block ×4, first 2 shown]
	v_mul_f64 v[12:13], v[28:29], s[0:1]
	v_mul_f64 v[14:15], v[30:31], s[0:1]
	;; [unrolled: 1-line block ×4, first 2 shown]
	v_add_co_u32 v34, vcc_lo, v46, s5
	v_add_co_ci_u32_e32 v35, vcc_lo, s4, v47, vcc_lo
	s_waitcnt vmcnt(0) lgkmcnt(1)
	v_mul_f64 v[36:37], v[62:63], v[24:25]
	v_mul_f64 v[40:41], v[62:63], v[22:23]
	s_clause 0x3
	buffer_load_dword v62, off, s[36:39], 0 offset:104
	buffer_load_dword v63, off, s[36:39], 0 offset:108
	;; [unrolled: 1-line block ×4, first 2 shown]
	v_fma_f64 v[30:31], v[60:61], v[22:23], v[36:37]
	v_fma_f64 v[32:33], v[60:61], v[24:25], -v[40:41]
	ds_read_b128 v[22:25], v16 offset:20160
	s_clause 0x3
	buffer_load_dword v68, off, s[36:39], 0 offset:72
	buffer_load_dword v69, off, s[36:39], 0 offset:76
	;; [unrolled: 1-line block ×4, first 2 shown]
	v_add_co_u32 v60, vcc_lo, v34, s2
	v_add_co_ci_u32_e32 v61, vcc_lo, s3, v35, vcc_lo
	global_store_dwordx4 v[38:39], v[56:59], off
	s_waitcnt vmcnt(4)
	v_mul_f64 v[42:43], v[64:65], v[2:3]
	v_mul_f64 v[44:45], v[64:65], v[0:1]
	v_fma_f64 v[36:37], v[62:63], v[0:1], v[42:43]
	v_fma_f64 v[40:41], v[62:63], v[2:3], -v[44:45]
	ds_read_b128 v[0:3], v16 offset:8064
	global_store_dwordx4 v[46:47], v[8:11], off
	global_store_dwordx4 v[34:35], v[12:15], off
	;; [unrolled: 1-line block ×3, first 2 shown]
	v_add_co_u32 v46, vcc_lo, v60, s5
	v_mul_f64 v[8:9], v[30:31], s[0:1]
	ds_read_b128 v[12:15], v16 offset:22176
	s_clause 0x3
	buffer_load_dword v64, off, s[36:39], 0 offset:56
	buffer_load_dword v65, off, s[36:39], 0 offset:60
	;; [unrolled: 1-line block ×4, first 2 shown]
	v_mul_f64 v[10:11], v[32:33], s[0:1]
	ds_read_b128 v[26:29], v16 offset:10080
	ds_read_b128 v[30:33], v16 offset:24192
	v_add_co_ci_u32_e32 v47, vcc_lo, s4, v61, vcc_lo
	ds_read_b128 v[60:63], v16 offset:26208
	s_clause 0x7
	buffer_load_dword v72, off, s[36:39], 0 offset:40
	buffer_load_dword v73, off, s[36:39], 0 offset:44
	;; [unrolled: 1-line block ×8, first 2 shown]
	s_waitcnt vmcnt(12) lgkmcnt(6)
	v_mul_f64 v[42:43], v[70:71], v[6:7]
	v_mul_f64 v[44:45], v[70:71], v[4:5]
	;; [unrolled: 1-line block ×4, first 2 shown]
	v_add_co_u32 v40, vcc_lo, v46, s2
	v_add_co_ci_u32_e32 v41, vcc_lo, s3, v47, vcc_lo
	s_waitcnt lgkmcnt(0)
	v_mul_f64 v[70:71], v[54:55], v[62:63]
	v_mul_f64 v[54:55], v[54:55], v[60:61]
	v_fma_f64 v[4:5], v[68:69], v[4:5], v[42:43]
	v_fma_f64 v[6:7], v[68:69], v[6:7], -v[44:45]
	v_mul_f64 v[68:69], v[50:51], v[20:21]
	v_mul_f64 v[50:51], v[50:51], v[18:19]
	;; [unrolled: 1-line block ×4, first 2 shown]
	s_waitcnt vmcnt(8)
	v_mul_f64 v[34:35], v[66:67], v[24:25]
	v_mul_f64 v[38:39], v[66:67], v[22:23]
	s_waitcnt vmcnt(4)
	v_mul_f64 v[16:17], v[74:75], v[2:3]
	v_mul_f64 v[36:37], v[74:75], v[0:1]
	s_clause 0x3
	buffer_load_dword v74, off, s[36:39], 0 offset:152
	buffer_load_dword v75, off, s[36:39], 0 offset:156
	;; [unrolled: 1-line block ×4, first 2 shown]
	s_waitcnt vmcnt(4)
	v_mul_f64 v[42:43], v[80:81], v[14:15]
	v_mul_f64 v[44:45], v[80:81], v[12:13]
	s_clause 0x3
	buffer_load_dword v80, off, s[36:39], 0 offset:184
	buffer_load_dword v81, off, s[36:39], 0 offset:188
	;; [unrolled: 1-line block ×4, first 2 shown]
	global_store_dwordx4 v[46:47], v[8:11], off
	global_store_dwordx4 v[40:41], v[56:59], off
	v_fma_f64 v[22:23], v[64:65], v[22:23], v[34:35]
	v_fma_f64 v[24:25], v[64:65], v[24:25], -v[38:39]
	v_fma_f64 v[8:9], v[72:73], v[0:1], v[16:17]
	v_fma_f64 v[10:11], v[72:73], v[2:3], -v[36:37]
	v_add_co_u32 v36, vcc_lo, v40, s5
	v_fma_f64 v[12:13], v[78:79], v[12:13], v[42:43]
	v_fma_f64 v[14:15], v[78:79], v[14:15], -v[44:45]
	v_add_co_ci_u32_e32 v37, vcc_lo, s4, v41, vcc_lo
	global_store_dwordx4 v[36:37], v[4:7], off
	v_mul_f64 v[0:1], v[22:23], s[0:1]
	v_mul_f64 v[2:3], v[24:25], s[0:1]
	;; [unrolled: 1-line block ×6, first 2 shown]
	s_waitcnt vmcnt(4)
	v_mul_f64 v[34:35], v[76:77], v[28:29]
	v_mul_f64 v[38:39], v[76:77], v[26:27]
	s_waitcnt vmcnt(0)
	v_mul_f64 v[64:65], v[82:83], v[32:33]
	v_mul_f64 v[66:67], v[82:83], v[30:31]
	v_fma_f64 v[16:17], v[74:75], v[26:27], v[34:35]
	v_fma_f64 v[22:23], v[74:75], v[28:29], -v[38:39]
	v_fma_f64 v[28:29], v[48:49], v[18:19], v[68:69]
	v_fma_f64 v[24:25], v[80:81], v[30:31], v[64:65]
	v_fma_f64 v[26:27], v[80:81], v[32:33], -v[66:67]
	v_fma_f64 v[30:31], v[48:49], v[20:21], -v[50:51]
	v_fma_f64 v[32:33], v[52:53], v[60:61], v[70:71]
	v_fma_f64 v[34:35], v[52:53], v[62:63], -v[54:55]
	v_add_co_u32 v38, vcc_lo, v36, s2
	v_add_co_ci_u32_e32 v39, vcc_lo, s3, v37, vcc_lo
	v_add_co_u32 v40, vcc_lo, v38, s5
	v_add_co_ci_u32_e32 v41, vcc_lo, s4, v39, vcc_lo
	global_store_dwordx4 v[38:39], v[0:3], off
	v_add_co_u32 v42, vcc_lo, v40, s2
	v_add_co_ci_u32_e32 v43, vcc_lo, s3, v41, vcc_lo
	v_mul_f64 v[16:17], v[16:17], s[0:1]
	v_mul_f64 v[18:19], v[22:23], s[0:1]
	global_store_dwordx4 v[40:41], v[8:11], off
	v_mul_f64 v[20:21], v[24:25], s[0:1]
	v_mul_f64 v[22:23], v[26:27], s[0:1]
	;; [unrolled: 1-line block ×6, first 2 shown]
	v_add_co_u32 v32, vcc_lo, v42, s5
	v_add_co_ci_u32_e32 v33, vcc_lo, s4, v43, vcc_lo
	v_add_co_u32 v4, vcc_lo, v32, s2
	v_add_co_ci_u32_e32 v5, vcc_lo, s3, v33, vcc_lo
	;; [unrolled: 2-line block ×4, first 2 shown]
	global_store_dwordx4 v[42:43], v[12:15], off
	global_store_dwordx4 v[32:33], v[16:19], off
	;; [unrolled: 1-line block ×5, first 2 shown]
.LBB0_18:
	s_endpgm
	.section	.rodata,"a",@progbits
	.p2align	6, 0x0
	.amdhsa_kernel bluestein_single_back_len1764_dim1_dp_op_CI_CI
		.amdhsa_group_segment_fixed_size 28224
		.amdhsa_private_segment_fixed_size 312
		.amdhsa_kernarg_size 104
		.amdhsa_user_sgpr_count 6
		.amdhsa_user_sgpr_private_segment_buffer 1
		.amdhsa_user_sgpr_dispatch_ptr 0
		.amdhsa_user_sgpr_queue_ptr 0
		.amdhsa_user_sgpr_kernarg_segment_ptr 1
		.amdhsa_user_sgpr_dispatch_id 0
		.amdhsa_user_sgpr_flat_scratch_init 0
		.amdhsa_user_sgpr_private_segment_size 0
		.amdhsa_wavefront_size32 1
		.amdhsa_uses_dynamic_stack 0
		.amdhsa_system_sgpr_private_segment_wavefront_offset 1
		.amdhsa_system_sgpr_workgroup_id_x 1
		.amdhsa_system_sgpr_workgroup_id_y 0
		.amdhsa_system_sgpr_workgroup_id_z 0
		.amdhsa_system_sgpr_workgroup_info 0
		.amdhsa_system_vgpr_workitem_id 0
		.amdhsa_next_free_vgpr 256
		.amdhsa_next_free_sgpr 40
		.amdhsa_reserve_vcc 1
		.amdhsa_reserve_flat_scratch 0
		.amdhsa_float_round_mode_32 0
		.amdhsa_float_round_mode_16_64 0
		.amdhsa_float_denorm_mode_32 3
		.amdhsa_float_denorm_mode_16_64 3
		.amdhsa_dx10_clamp 1
		.amdhsa_ieee_mode 1
		.amdhsa_fp16_overflow 0
		.amdhsa_workgroup_processor_mode 1
		.amdhsa_memory_ordered 1
		.amdhsa_forward_progress 0
		.amdhsa_shared_vgpr_count 0
		.amdhsa_exception_fp_ieee_invalid_op 0
		.amdhsa_exception_fp_denorm_src 0
		.amdhsa_exception_fp_ieee_div_zero 0
		.amdhsa_exception_fp_ieee_overflow 0
		.amdhsa_exception_fp_ieee_underflow 0
		.amdhsa_exception_fp_ieee_inexact 0
		.amdhsa_exception_int_div_zero 0
	.end_amdhsa_kernel
	.text
.Lfunc_end0:
	.size	bluestein_single_back_len1764_dim1_dp_op_CI_CI, .Lfunc_end0-bluestein_single_back_len1764_dim1_dp_op_CI_CI
                                        ; -- End function
	.section	.AMDGPU.csdata,"",@progbits
; Kernel info:
; codeLenInByte = 22212
; NumSgprs: 42
; NumVgprs: 256
; ScratchSize: 312
; MemoryBound: 0
; FloatMode: 240
; IeeeMode: 1
; LDSByteSize: 28224 bytes/workgroup (compile time only)
; SGPRBlocks: 5
; VGPRBlocks: 31
; NumSGPRsForWavesPerEU: 42
; NumVGPRsForWavesPerEU: 256
; Occupancy: 4
; WaveLimiterHint : 1
; COMPUTE_PGM_RSRC2:SCRATCH_EN: 1
; COMPUTE_PGM_RSRC2:USER_SGPR: 6
; COMPUTE_PGM_RSRC2:TRAP_HANDLER: 0
; COMPUTE_PGM_RSRC2:TGID_X_EN: 1
; COMPUTE_PGM_RSRC2:TGID_Y_EN: 0
; COMPUTE_PGM_RSRC2:TGID_Z_EN: 0
; COMPUTE_PGM_RSRC2:TIDIG_COMP_CNT: 0
	.text
	.p2alignl 6, 3214868480
	.fill 48, 4, 3214868480
	.type	__hip_cuid_9e2653f1a03e882d,@object ; @__hip_cuid_9e2653f1a03e882d
	.section	.bss,"aw",@nobits
	.globl	__hip_cuid_9e2653f1a03e882d
__hip_cuid_9e2653f1a03e882d:
	.byte	0                               ; 0x0
	.size	__hip_cuid_9e2653f1a03e882d, 1

	.ident	"AMD clang version 19.0.0git (https://github.com/RadeonOpenCompute/llvm-project roc-6.4.0 25133 c7fe45cf4b819c5991fe208aaa96edf142730f1d)"
	.section	".note.GNU-stack","",@progbits
	.addrsig
	.addrsig_sym __hip_cuid_9e2653f1a03e882d
	.amdgpu_metadata
---
amdhsa.kernels:
  - .args:
      - .actual_access:  read_only
        .address_space:  global
        .offset:         0
        .size:           8
        .value_kind:     global_buffer
      - .actual_access:  read_only
        .address_space:  global
        .offset:         8
        .size:           8
        .value_kind:     global_buffer
      - .actual_access:  read_only
        .address_space:  global
        .offset:         16
        .size:           8
        .value_kind:     global_buffer
      - .actual_access:  read_only
        .address_space:  global
        .offset:         24
        .size:           8
        .value_kind:     global_buffer
      - .actual_access:  read_only
        .address_space:  global
        .offset:         32
        .size:           8
        .value_kind:     global_buffer
      - .offset:         40
        .size:           8
        .value_kind:     by_value
      - .address_space:  global
        .offset:         48
        .size:           8
        .value_kind:     global_buffer
      - .address_space:  global
        .offset:         56
        .size:           8
        .value_kind:     global_buffer
      - .address_space:  global
        .offset:         64
        .size:           8
        .value_kind:     global_buffer
      - .address_space:  global
        .offset:         72
        .size:           8
        .value_kind:     global_buffer
      - .offset:         80
        .size:           4
        .value_kind:     by_value
      - .address_space:  global
        .offset:         88
        .size:           8
        .value_kind:     global_buffer
      - .address_space:  global
        .offset:         96
        .size:           8
        .value_kind:     global_buffer
    .group_segment_fixed_size: 28224
    .kernarg_segment_align: 8
    .kernarg_segment_size: 104
    .language:       OpenCL C
    .language_version:
      - 2
      - 0
    .max_flat_workgroup_size: 126
    .name:           bluestein_single_back_len1764_dim1_dp_op_CI_CI
    .private_segment_fixed_size: 312
    .sgpr_count:     42
    .sgpr_spill_count: 0
    .symbol:         bluestein_single_back_len1764_dim1_dp_op_CI_CI.kd
    .uniform_work_group_size: 1
    .uses_dynamic_stack: false
    .vgpr_count:     256
    .vgpr_spill_count: 77
    .wavefront_size: 32
    .workgroup_processor_mode: 1
amdhsa.target:   amdgcn-amd-amdhsa--gfx1030
amdhsa.version:
  - 1
  - 2
...

	.end_amdgpu_metadata
